;; amdgpu-corpus repo=ROCm/rocFFT kind=compiled arch=gfx1201 opt=O3
	.text
	.amdgcn_target "amdgcn-amd-amdhsa--gfx1201"
	.amdhsa_code_object_version 6
	.protected	fft_rtc_back_len2250_factors_10_3_5_3_5_wgs_90_tpt_90_halfLds_half_op_CI_CI_sbrr_dirReg ; -- Begin function fft_rtc_back_len2250_factors_10_3_5_3_5_wgs_90_tpt_90_halfLds_half_op_CI_CI_sbrr_dirReg
	.globl	fft_rtc_back_len2250_factors_10_3_5_3_5_wgs_90_tpt_90_halfLds_half_op_CI_CI_sbrr_dirReg
	.p2align	8
	.type	fft_rtc_back_len2250_factors_10_3_5_3_5_wgs_90_tpt_90_halfLds_half_op_CI_CI_sbrr_dirReg,@function
fft_rtc_back_len2250_factors_10_3_5_3_5_wgs_90_tpt_90_halfLds_half_op_CI_CI_sbrr_dirReg: ; @fft_rtc_back_len2250_factors_10_3_5_3_5_wgs_90_tpt_90_halfLds_half_op_CI_CI_sbrr_dirReg
; %bb.0:
	s_clause 0x2
	s_load_b128 s[12:15], s[0:1], 0x18
	s_load_b128 s[8:11], s[0:1], 0x0
	;; [unrolled: 1-line block ×3, first 2 shown]
	v_mul_u32_u24_e32 v1, 0x2d9, v0
	v_mov_b32_e32 v7, 0
	v_mov_b32_e32 v5, 0
	;; [unrolled: 1-line block ×3, first 2 shown]
	s_wait_kmcnt 0x0
	s_load_b64 s[18:19], s[12:13], 0x0
	s_load_b64 s[16:17], s[14:15], 0x0
	v_lshrrev_b32_e32 v1, 16, v1
	v_cmp_lt_u64_e64 s2, s[10:11], 2
	s_delay_alu instid0(VALU_DEP_2) | instskip(NEXT) | instid1(VALU_DEP_2)
	v_dual_mov_b32 v10, v7 :: v_dual_add_nc_u32 v9, ttmp9, v1
	s_and_b32 vcc_lo, exec_lo, s2
	s_cbranch_vccnz .LBB0_8
; %bb.1:
	s_load_b64 s[2:3], s[0:1], 0x10
	v_mov_b32_e32 v5, 0
	v_mov_b32_e32 v6, 0
	s_delay_alu instid0(VALU_DEP_2)
	v_mov_b32_e32 v1, v5
	s_add_nc_u64 s[20:21], s[14:15], 8
	s_add_nc_u64 s[22:23], s[12:13], 8
	s_mov_b64 s[24:25], 1
	v_mov_b32_e32 v2, v6
	s_wait_kmcnt 0x0
	s_add_nc_u64 s[26:27], s[2:3], 8
	s_mov_b32 s3, 0
.LBB0_2:                                ; =>This Inner Loop Header: Depth=1
	s_load_b64 s[28:29], s[26:27], 0x0
                                        ; implicit-def: $vgpr3_vgpr4
	s_mov_b32 s2, exec_lo
	s_wait_kmcnt 0x0
	v_or_b32_e32 v8, s29, v10
	s_delay_alu instid0(VALU_DEP_1)
	v_cmpx_ne_u64_e32 0, v[7:8]
	s_wait_alu 0xfffe
	s_xor_b32 s30, exec_lo, s2
	s_cbranch_execz .LBB0_4
; %bb.3:                                ;   in Loop: Header=BB0_2 Depth=1
	s_cvt_f32_u32 s2, s28
	s_cvt_f32_u32 s31, s29
	s_sub_nc_u64 s[36:37], 0, s[28:29]
	s_wait_alu 0xfffe
	s_delay_alu instid0(SALU_CYCLE_1) | instskip(SKIP_1) | instid1(SALU_CYCLE_2)
	s_fmamk_f32 s2, s31, 0x4f800000, s2
	s_wait_alu 0xfffe
	v_s_rcp_f32 s2, s2
	s_delay_alu instid0(TRANS32_DEP_1) | instskip(SKIP_1) | instid1(SALU_CYCLE_2)
	s_mul_f32 s2, s2, 0x5f7ffffc
	s_wait_alu 0xfffe
	s_mul_f32 s31, s2, 0x2f800000
	s_wait_alu 0xfffe
	s_delay_alu instid0(SALU_CYCLE_2) | instskip(SKIP_1) | instid1(SALU_CYCLE_2)
	s_trunc_f32 s31, s31
	s_wait_alu 0xfffe
	s_fmamk_f32 s2, s31, 0xcf800000, s2
	s_cvt_u32_f32 s35, s31
	s_wait_alu 0xfffe
	s_delay_alu instid0(SALU_CYCLE_1) | instskip(SKIP_1) | instid1(SALU_CYCLE_2)
	s_cvt_u32_f32 s34, s2
	s_wait_alu 0xfffe
	s_mul_u64 s[38:39], s[36:37], s[34:35]
	s_wait_alu 0xfffe
	s_mul_hi_u32 s41, s34, s39
	s_mul_i32 s40, s34, s39
	s_mul_hi_u32 s2, s34, s38
	s_mul_i32 s33, s35, s38
	s_wait_alu 0xfffe
	s_add_nc_u64 s[40:41], s[2:3], s[40:41]
	s_mul_hi_u32 s31, s35, s38
	s_mul_hi_u32 s42, s35, s39
	s_add_co_u32 s2, s40, s33
	s_wait_alu 0xfffe
	s_add_co_ci_u32 s2, s41, s31
	s_mul_i32 s38, s35, s39
	s_add_co_ci_u32 s39, s42, 0
	s_wait_alu 0xfffe
	s_add_nc_u64 s[38:39], s[2:3], s[38:39]
	s_wait_alu 0xfffe
	v_add_co_u32 v3, s2, s34, s38
	s_delay_alu instid0(VALU_DEP_1) | instskip(SKIP_1) | instid1(VALU_DEP_1)
	s_cmp_lg_u32 s2, 0
	s_add_co_ci_u32 s35, s35, s39
	v_readfirstlane_b32 s34, v3
	s_wait_alu 0xfffe
	s_delay_alu instid0(VALU_DEP_1)
	s_mul_u64 s[36:37], s[36:37], s[34:35]
	s_wait_alu 0xfffe
	s_mul_hi_u32 s39, s34, s37
	s_mul_i32 s38, s34, s37
	s_mul_hi_u32 s2, s34, s36
	s_mul_i32 s33, s35, s36
	s_wait_alu 0xfffe
	s_add_nc_u64 s[38:39], s[2:3], s[38:39]
	s_mul_hi_u32 s31, s35, s36
	s_mul_hi_u32 s34, s35, s37
	s_wait_alu 0xfffe
	s_add_co_u32 s2, s38, s33
	s_add_co_ci_u32 s2, s39, s31
	s_mul_i32 s36, s35, s37
	s_add_co_ci_u32 s37, s34, 0
	s_wait_alu 0xfffe
	s_add_nc_u64 s[36:37], s[2:3], s[36:37]
	s_wait_alu 0xfffe
	v_add_co_u32 v8, s2, v3, s36
	s_delay_alu instid0(VALU_DEP_1) | instskip(SKIP_1) | instid1(VALU_DEP_1)
	s_cmp_lg_u32 s2, 0
	s_add_co_ci_u32 s2, s35, s37
	v_mul_hi_u32 v15, v9, v8
	s_wait_alu 0xfffe
	v_mad_co_u64_u32 v[3:4], null, v9, s2, 0
	v_mad_co_u64_u32 v[11:12], null, v10, v8, 0
	;; [unrolled: 1-line block ×3, first 2 shown]
	s_delay_alu instid0(VALU_DEP_3) | instskip(SKIP_1) | instid1(VALU_DEP_4)
	v_add_co_u32 v3, vcc_lo, v15, v3
	s_wait_alu 0xfffd
	v_add_co_ci_u32_e32 v4, vcc_lo, 0, v4, vcc_lo
	s_delay_alu instid0(VALU_DEP_2) | instskip(SKIP_1) | instid1(VALU_DEP_2)
	v_add_co_u32 v3, vcc_lo, v3, v11
	s_wait_alu 0xfffd
	v_add_co_ci_u32_e32 v3, vcc_lo, v4, v12, vcc_lo
	s_wait_alu 0xfffd
	v_add_co_ci_u32_e32 v4, vcc_lo, 0, v14, vcc_lo
	s_delay_alu instid0(VALU_DEP_2) | instskip(SKIP_1) | instid1(VALU_DEP_2)
	v_add_co_u32 v8, vcc_lo, v3, v13
	s_wait_alu 0xfffd
	v_add_co_ci_u32_e32 v11, vcc_lo, 0, v4, vcc_lo
	s_delay_alu instid0(VALU_DEP_2) | instskip(SKIP_1) | instid1(VALU_DEP_3)
	v_mul_lo_u32 v12, s29, v8
	v_mad_co_u64_u32 v[3:4], null, s28, v8, 0
	v_mul_lo_u32 v13, s28, v11
	s_delay_alu instid0(VALU_DEP_2) | instskip(NEXT) | instid1(VALU_DEP_2)
	v_sub_co_u32 v3, vcc_lo, v9, v3
	v_add3_u32 v4, v4, v13, v12
	s_delay_alu instid0(VALU_DEP_1) | instskip(SKIP_1) | instid1(VALU_DEP_1)
	v_sub_nc_u32_e32 v12, v10, v4
	s_wait_alu 0xfffd
	v_subrev_co_ci_u32_e64 v12, s2, s29, v12, vcc_lo
	v_add_co_u32 v13, s2, v8, 2
	s_wait_alu 0xf1ff
	v_add_co_ci_u32_e64 v14, s2, 0, v11, s2
	v_sub_co_u32 v15, s2, v3, s28
	v_sub_co_ci_u32_e32 v4, vcc_lo, v10, v4, vcc_lo
	s_wait_alu 0xf1ff
	v_subrev_co_ci_u32_e64 v12, s2, 0, v12, s2
	s_delay_alu instid0(VALU_DEP_3) | instskip(NEXT) | instid1(VALU_DEP_3)
	v_cmp_le_u32_e32 vcc_lo, s28, v15
	v_cmp_eq_u32_e64 s2, s29, v4
	s_wait_alu 0xfffd
	v_cndmask_b32_e64 v15, 0, -1, vcc_lo
	v_cmp_le_u32_e32 vcc_lo, s29, v12
	s_wait_alu 0xfffd
	v_cndmask_b32_e64 v16, 0, -1, vcc_lo
	v_cmp_le_u32_e32 vcc_lo, s28, v3
	;; [unrolled: 3-line block ×3, first 2 shown]
	s_wait_alu 0xfffd
	v_cndmask_b32_e64 v17, 0, -1, vcc_lo
	v_cmp_eq_u32_e32 vcc_lo, s29, v12
	s_wait_alu 0xf1ff
	s_delay_alu instid0(VALU_DEP_2)
	v_cndmask_b32_e64 v3, v17, v3, s2
	s_wait_alu 0xfffd
	v_cndmask_b32_e32 v12, v16, v15, vcc_lo
	v_add_co_u32 v15, vcc_lo, v8, 1
	s_wait_alu 0xfffd
	v_add_co_ci_u32_e32 v16, vcc_lo, 0, v11, vcc_lo
	s_delay_alu instid0(VALU_DEP_3) | instskip(SKIP_1) | instid1(VALU_DEP_2)
	v_cmp_ne_u32_e32 vcc_lo, 0, v12
	s_wait_alu 0xfffd
	v_cndmask_b32_e32 v4, v16, v14, vcc_lo
	v_cndmask_b32_e32 v12, v15, v13, vcc_lo
	v_cmp_ne_u32_e32 vcc_lo, 0, v3
	s_wait_alu 0xfffd
	s_delay_alu instid0(VALU_DEP_3) | instskip(NEXT) | instid1(VALU_DEP_3)
	v_cndmask_b32_e32 v4, v11, v4, vcc_lo
	v_cndmask_b32_e32 v3, v8, v12, vcc_lo
.LBB0_4:                                ;   in Loop: Header=BB0_2 Depth=1
	s_wait_alu 0xfffe
	s_and_not1_saveexec_b32 s2, s30
	s_cbranch_execz .LBB0_6
; %bb.5:                                ;   in Loop: Header=BB0_2 Depth=1
	v_cvt_f32_u32_e32 v3, s28
	s_sub_co_i32 s30, 0, s28
	s_delay_alu instid0(VALU_DEP_1) | instskip(NEXT) | instid1(TRANS32_DEP_1)
	v_rcp_iflag_f32_e32 v3, v3
	v_mul_f32_e32 v3, 0x4f7ffffe, v3
	s_delay_alu instid0(VALU_DEP_1) | instskip(SKIP_1) | instid1(VALU_DEP_1)
	v_cvt_u32_f32_e32 v3, v3
	s_wait_alu 0xfffe
	v_mul_lo_u32 v4, s30, v3
	s_delay_alu instid0(VALU_DEP_1) | instskip(NEXT) | instid1(VALU_DEP_1)
	v_mul_hi_u32 v4, v3, v4
	v_add_nc_u32_e32 v3, v3, v4
	s_delay_alu instid0(VALU_DEP_1) | instskip(NEXT) | instid1(VALU_DEP_1)
	v_mul_hi_u32 v3, v9, v3
	v_mul_lo_u32 v4, v3, s28
	v_add_nc_u32_e32 v8, 1, v3
	s_delay_alu instid0(VALU_DEP_2) | instskip(NEXT) | instid1(VALU_DEP_1)
	v_sub_nc_u32_e32 v4, v9, v4
	v_subrev_nc_u32_e32 v11, s28, v4
	v_cmp_le_u32_e32 vcc_lo, s28, v4
	s_wait_alu 0xfffd
	s_delay_alu instid0(VALU_DEP_2) | instskip(NEXT) | instid1(VALU_DEP_1)
	v_dual_cndmask_b32 v4, v4, v11 :: v_dual_cndmask_b32 v3, v3, v8
	v_cmp_le_u32_e32 vcc_lo, s28, v4
	s_delay_alu instid0(VALU_DEP_2) | instskip(SKIP_2) | instid1(VALU_DEP_2)
	v_add_nc_u32_e32 v8, 1, v3
	v_mov_b32_e32 v4, v7
	s_wait_alu 0xfffd
	v_cndmask_b32_e32 v3, v3, v8, vcc_lo
.LBB0_6:                                ;   in Loop: Header=BB0_2 Depth=1
	s_wait_alu 0xfffe
	s_or_b32 exec_lo, exec_lo, s2
	v_mul_lo_u32 v8, v4, s28
	s_delay_alu instid0(VALU_DEP_2)
	v_mul_lo_u32 v13, v3, s29
	s_load_b64 s[30:31], s[22:23], 0x0
	v_mad_co_u64_u32 v[11:12], null, v3, s28, 0
	s_load_b64 s[28:29], s[20:21], 0x0
	s_add_nc_u64 s[24:25], s[24:25], 1
	s_add_nc_u64 s[20:21], s[20:21], 8
	s_wait_alu 0xfffe
	v_cmp_ge_u64_e64 s2, s[24:25], s[10:11]
	s_add_nc_u64 s[22:23], s[22:23], 8
	s_add_nc_u64 s[26:27], s[26:27], 8
	v_add3_u32 v8, v12, v13, v8
	v_sub_co_u32 v9, vcc_lo, v9, v11
	s_wait_alu 0xfffd
	s_delay_alu instid0(VALU_DEP_2) | instskip(SKIP_2) | instid1(VALU_DEP_1)
	v_sub_co_ci_u32_e32 v8, vcc_lo, v10, v8, vcc_lo
	s_and_b32 vcc_lo, exec_lo, s2
	s_wait_kmcnt 0x0
	v_mul_lo_u32 v10, s30, v8
	v_mul_lo_u32 v11, s31, v9
	v_mad_co_u64_u32 v[5:6], null, s30, v9, v[5:6]
	v_mul_lo_u32 v8, s28, v8
	v_mul_lo_u32 v12, s29, v9
	v_mad_co_u64_u32 v[1:2], null, s28, v9, v[1:2]
	s_delay_alu instid0(VALU_DEP_4) | instskip(NEXT) | instid1(VALU_DEP_2)
	v_add3_u32 v6, v11, v6, v10
	v_add3_u32 v2, v12, v2, v8
	s_wait_alu 0xfffe
	s_cbranch_vccnz .LBB0_9
; %bb.7:                                ;   in Loop: Header=BB0_2 Depth=1
	v_dual_mov_b32 v10, v4 :: v_dual_mov_b32 v9, v3
	s_branch .LBB0_2
.LBB0_8:
	v_dual_mov_b32 v1, v5 :: v_dual_mov_b32 v2, v6
	s_delay_alu instid0(VALU_DEP_2)
	v_dual_mov_b32 v3, v9 :: v_dual_mov_b32 v4, v10
.LBB0_9:
	s_load_b64 s[0:1], s[0:1], 0x28
	v_mul_hi_u32 v69, 0x2d82d83, v0
	s_lshl_b64 s[10:11], s[10:11], 3
                                        ; implicit-def: $vgpr7
                                        ; implicit-def: $vgpr8
	s_wait_alu 0xfffe
	s_add_nc_u64 s[2:3], s[14:15], s[10:11]
	s_wait_kmcnt 0x0
	v_cmp_gt_u64_e32 vcc_lo, s[0:1], v[3:4]
	v_cmp_le_u64_e64 s0, s[0:1], v[3:4]
	s_delay_alu instid0(VALU_DEP_1)
	s_and_saveexec_b32 s1, s0
	s_wait_alu 0xfffe
	s_xor_b32 s0, exec_lo, s1
; %bb.10:
	v_mul_u32_u24_e32 v5, 0x5a, v69
                                        ; implicit-def: $vgpr69
	s_delay_alu instid0(VALU_DEP_1) | instskip(NEXT) | instid1(VALU_DEP_1)
	v_sub_nc_u32_e32 v7, v0, v5
                                        ; implicit-def: $vgpr0
                                        ; implicit-def: $vgpr5_vgpr6
	v_add_nc_u32_e32 v8, 0x5a, v7
; %bb.11:
	s_wait_alu 0xfffe
	s_or_saveexec_b32 s1, s0
	s_load_b64 s[2:3], s[2:3], 0x0
                                        ; implicit-def: $vgpr24
                                        ; implicit-def: $vgpr54
                                        ; implicit-def: $vgpr23
                                        ; implicit-def: $vgpr33
                                        ; implicit-def: $vgpr25
                                        ; implicit-def: $vgpr53
                                        ; implicit-def: $vgpr22
                                        ; implicit-def: $vgpr31
                                        ; implicit-def: $vgpr26
                                        ; implicit-def: $vgpr52
                                        ; implicit-def: $vgpr21
                                        ; implicit-def: $vgpr30
                                        ; implicit-def: $vgpr28
                                        ; implicit-def: $vgpr56
                                        ; implicit-def: $vgpr20
                                        ; implicit-def: $vgpr32
                                        ; implicit-def: $vgpr27
                                        ; implicit-def: $vgpr17
                                        ; implicit-def: $vgpr14
                                        ; implicit-def: $vgpr48
                                        ; implicit-def: $vgpr36
                                        ; implicit-def: $vgpr49
                                        ; implicit-def: $vgpr39
                                        ; implicit-def: $vgpr18
                                        ; implicit-def: $vgpr37
                                        ; implicit-def: $vgpr47
                                        ; implicit-def: $vgpr40
                                        ; implicit-def: $vgpr15
                                        ; implicit-def: $vgpr38
                                        ; implicit-def: $vgpr50
                                        ; implicit-def: $vgpr41
                                        ; implicit-def: $vgpr16
                                        ; implicit-def: $vgpr43
                                        ; implicit-def: $vgpr51
                                        ; implicit-def: $vgpr42
                                        ; implicit-def: $vgpr19
                                        ; implicit-def: $vgpr44
                                        ; implicit-def: $vgpr11
                                        ; implicit-def: $vgpr34
                                        ; implicit-def: $vgpr35
                                        ; implicit-def: $vgpr55
                                        ; implicit-def: $vgpr68
                                        ; implicit-def: $vgpr59
                                        ; implicit-def: $vgpr29
                                        ; implicit-def: $vgpr57
                                        ; implicit-def: $vgpr65
                                        ; implicit-def: $vgpr60
                                        ; implicit-def: $vgpr10
                                        ; implicit-def: $vgpr58
                                        ; implicit-def: $vgpr66
                                        ; implicit-def: $vgpr61
                                        ; implicit-def: $vgpr12
                                        ; implicit-def: $vgpr63
                                        ; implicit-def: $vgpr67
                                        ; implicit-def: $vgpr62
                                        ; implicit-def: $vgpr13
                                        ; implicit-def: $vgpr64
                                        ; implicit-def: $vgpr9
                                        ; implicit-def: $vgpr45
                                        ; implicit-def: $vgpr46
	s_xor_b32 exec_lo, exec_lo, s1
	s_cbranch_execz .LBB0_15
; %bb.12:
	s_add_nc_u64 s[10:11], s[12:13], s[10:11]
	v_mul_u32_u24_e32 v7, 0x5a, v69
	s_load_b64 s[10:11], s[10:11], 0x0
	v_lshlrev_b64_e32 v[5:6], 2, v[5:6]
                                        ; implicit-def: $vgpr48
                                        ; implicit-def: $vgpr56
                                        ; implicit-def: $vgpr52
                                        ; implicit-def: $vgpr53
                                        ; implicit-def: $vgpr54
	s_delay_alu instid0(VALU_DEP_2) | instskip(NEXT) | instid1(VALU_DEP_1)
	v_sub_nc_u32_e32 v7, v0, v7
	v_mad_co_u64_u32 v[8:9], null, s18, v7, 0
	v_add_nc_u32_e32 v19, 0xe1, v7
	v_add_nc_u32_e32 v22, 0x1c2, v7
	;; [unrolled: 1-line block ×3, first 2 shown]
	s_delay_alu instid0(VALU_DEP_4) | instskip(NEXT) | instid1(VALU_DEP_4)
	v_dual_mov_b32 v0, v9 :: v_dual_add_nc_u32 v39, 0x681, v7
	v_mad_co_u64_u32 v[10:11], null, s18, v19, 0
	s_wait_kmcnt 0x0
	v_mul_lo_u32 v9, s11, v3
	v_mul_lo_u32 v20, s10, v4
	v_mad_co_u64_u32 v[14:15], null, s10, v3, 0
	v_mad_co_u64_u32 v[12:13], null, s18, v22, 0
	;; [unrolled: 1-line block ×3, first 2 shown]
	v_dual_mov_b32 v0, v11 :: v_dual_add_nc_u32 v23, 0x2a3, v7
	s_delay_alu instid0(VALU_DEP_4) | instskip(NEXT) | instid1(VALU_DEP_4)
	v_add3_u32 v15, v15, v20, v9
	v_dual_mov_b32 v11, v13 :: v_dual_add_nc_u32 v24, 0x384, v7
	s_delay_alu instid0(VALU_DEP_3) | instskip(SKIP_1) | instid1(VALU_DEP_4)
	v_mad_co_u64_u32 v[17:18], null, s18, v23, 0
	v_mov_b32_e32 v9, v16
	v_lshlrev_b64_e32 v[13:14], 2, v[14:15]
	v_mad_co_u64_u32 v[19:20], null, s19, v19, v[0:1]
	v_mad_co_u64_u32 v[15:16], null, s19, v22, v[11:12]
	s_delay_alu instid0(VALU_DEP_4) | instskip(NEXT) | instid1(VALU_DEP_4)
	v_lshlrev_b64_e32 v[8:9], 2, v[8:9]
	v_add_co_u32 v0, s0, s4, v13
	s_wait_alu 0xf1ff
	v_add_co_ci_u32_e64 v14, s0, s5, v14, s0
	v_dual_mov_b32 v16, v18 :: v_dual_mov_b32 v11, v19
	s_delay_alu instid0(VALU_DEP_3) | instskip(SKIP_1) | instid1(VALU_DEP_3)
	v_add_co_u32 v0, s0, v0, v5
	s_wait_alu 0xf1ff
	v_add_co_ci_u32_e64 v5, s0, v14, v6, s0
	v_mad_co_u64_u32 v[20:21], null, s18, v24, 0
	s_delay_alu instid0(VALU_DEP_3)
	v_add_co_u32 v14, s0, v0, v8
	v_mov_b32_e32 v13, v15
	s_wait_alu 0xf1ff
	v_add_co_ci_u32_e64 v15, s0, v5, v9, s0
	v_mad_co_u64_u32 v[8:9], null, s19, v23, v[16:17]
	v_lshlrev_b64_e32 v[10:11], 2, v[10:11]
	v_mov_b32_e32 v6, v21
	v_mad_co_u64_u32 v[22:23], null, s18, v26, 0
	s_delay_alu instid0(VALU_DEP_4)
	v_mov_b32_e32 v18, v8
	v_add_nc_u32_e32 v8, 0x546, v7
	v_add_co_u32 v9, s0, v0, v10
	v_mad_co_u64_u32 v[24:25], null, s19, v24, v[6:7]
	s_wait_alu 0xf1ff
	v_add_co_ci_u32_e64 v10, s0, v5, v11, s0
	v_lshlrev_b64_e32 v[11:12], 2, v[12:13]
	v_add_nc_u32_e32 v13, 0x627, v7
	v_lshlrev_b64_e32 v[16:17], 2, v[17:18]
	v_mad_co_u64_u32 v[18:19], null, s18, v8, 0
	v_dual_mov_b32 v6, v23 :: v_dual_mov_b32 v21, v24
	v_add_co_u32 v11, s0, v0, v11
	s_wait_alu 0xf1ff
	v_add_co_ci_u32_e64 v12, s0, v5, v12, s0
	s_delay_alu instid0(VALU_DEP_3) | instskip(SKIP_4) | instid1(VALU_DEP_4)
	v_mad_co_u64_u32 v[23:24], null, s19, v26, v[6:7]
	v_mov_b32_e32 v6, v19
	v_mad_co_u64_u32 v[24:25], null, s18, v13, 0
	v_lshlrev_b64_e32 v[20:21], 2, v[20:21]
	v_add_co_u32 v16, s0, v0, v16
	v_mad_co_u64_u32 v[26:27], null, s19, v8, v[6:7]
	v_add_nc_u32_e32 v8, 0x708, v7
	v_mov_b32_e32 v6, v25
	v_lshlrev_b64_e32 v[22:23], 2, v[22:23]
	s_wait_alu 0xf1ff
	v_add_co_ci_u32_e64 v17, s0, v5, v17, s0
	v_add_co_u32 v20, s0, v0, v20
	v_mov_b32_e32 v19, v26
	v_mad_co_u64_u32 v[25:26], null, s19, v13, v[6:7]
	v_mad_co_u64_u32 v[26:27], null, s18, v8, 0
	v_add_nc_u32_e32 v13, 0x7e9, v7
	s_delay_alu instid0(VALU_DEP_4)
	v_lshlrev_b64_e32 v[18:19], 2, v[18:19]
	s_wait_alu 0xf1ff
	v_add_co_ci_u32_e64 v21, s0, v5, v21, s0
	v_add_co_u32 v22, s0, v0, v22
	v_mov_b32_e32 v6, v27
	v_mad_co_u64_u32 v[28:29], null, s18, v13, 0
	v_lshlrev_b64_e32 v[24:25], 2, v[24:25]
	s_wait_alu 0xf1ff
	v_add_co_ci_u32_e64 v23, s0, v5, v23, s0
	v_mad_co_u64_u32 v[30:31], null, s19, v8, v[6:7]
	v_add_nc_u32_e32 v8, 0x5a, v7
	v_mov_b32_e32 v6, v29
	v_add_co_u32 v18, s0, v0, v18
	s_wait_alu 0xf1ff
	v_add_co_ci_u32_e64 v19, s0, v5, v19, s0
	v_mov_b32_e32 v27, v30
	v_mad_co_u64_u32 v[29:30], null, s19, v13, v[6:7]
	v_mad_co_u64_u32 v[30:31], null, s18, v8, 0
	v_add_co_u32 v24, s0, v0, v24
	s_wait_alu 0xf1ff
	v_add_co_ci_u32_e64 v25, s0, v5, v25, s0
	s_clause 0x7
	global_load_b32 v46, v[14:15], off
	global_load_b32 v9, v[9:10], off
	;; [unrolled: 1-line block ×8, first 2 shown]
	v_dual_mov_b32 v6, v31 :: v_dual_add_nc_u32 v11, 0x13b, v7
	v_lshlrev_b64_e32 v[14:15], 2, v[26:27]
	v_add_nc_u32_e32 v27, 0x21c, v7
	s_delay_alu instid0(VALU_DEP_3) | instskip(NEXT) | instid1(VALU_DEP_4)
	v_mad_co_u64_u32 v[16:17], null, s18, v11, 0
	v_mad_co_u64_u32 v[18:19], null, s19, v8, v[6:7]
	s_delay_alu instid0(VALU_DEP_3) | instskip(SKIP_2) | instid1(VALU_DEP_4)
	v_mad_co_u64_u32 v[21:22], null, s18, v27, 0
	v_lshlrev_b64_e32 v[19:20], 2, v[28:29]
	v_add_co_u32 v14, s0, v0, v14
	v_dual_mov_b32 v6, v17 :: v_dual_mov_b32 v31, v18
	s_wait_alu 0xf1ff
	v_add_co_ci_u32_e64 v15, s0, v5, v15, s0
	s_delay_alu instid0(VALU_DEP_2) | instskip(SKIP_4) | instid1(VALU_DEP_4)
	v_mad_co_u64_u32 v[17:18], null, s19, v11, v[6:7]
	v_dual_mov_b32 v6, v22 :: v_dual_add_nc_u32 v11, 0x2fd, v7
	v_lshlrev_b64_e32 v[23:24], 2, v[30:31]
	v_add_nc_u32_e32 v30, 0x3de, v7
	v_add_co_u32 v18, s0, v0, v19
	v_mad_co_u64_u32 v[25:26], null, s18, v11, 0
	v_mad_co_u64_u32 v[27:28], null, s19, v27, v[6:7]
	s_delay_alu instid0(VALU_DEP_4) | instskip(SKIP_2) | instid1(VALU_DEP_4)
	v_mad_co_u64_u32 v[28:29], null, s18, v30, 0
	s_wait_alu 0xf1ff
	v_add_co_ci_u32_e64 v19, s0, v5, v20, s0
	v_mov_b32_e32 v6, v26
	v_lshlrev_b64_e32 v[16:17], 2, v[16:17]
	v_mov_b32_e32 v22, v27
	v_add_co_u32 v23, s0, v0, v23
	s_delay_alu instid0(VALU_DEP_4) | instskip(SKIP_1) | instid1(VALU_DEP_4)
	v_mad_co_u64_u32 v[26:27], null, s19, v11, v[6:7]
	v_dual_mov_b32 v6, v29 :: v_dual_add_nc_u32 v11, 0x4bf, v7
	v_lshlrev_b64_e32 v[20:21], 2, v[21:22]
	v_add_nc_u32_e32 v22, 0x5a0, v7
	s_wait_alu 0xf1ff
	v_add_co_ci_u32_e64 v24, s0, v5, v24, s0
	v_mad_co_u64_u32 v[29:30], null, s19, v30, v[6:7]
	v_mad_co_u64_u32 v[30:31], null, s18, v11, 0
	;; [unrolled: 1-line block ×3, first 2 shown]
	v_add_co_u32 v16, s0, v0, v16
	v_lshlrev_b64_e32 v[25:26], 2, v[25:26]
	s_wait_alu 0xf1ff
	v_add_co_ci_u32_e64 v17, s0, v5, v17, s0
	v_mov_b32_e32 v6, v31
	v_add_co_u32 v20, s0, v0, v20
	v_lshlrev_b64_e32 v[27:28], 2, v[28:29]
	s_wait_alu 0xf1ff
	v_add_co_ci_u32_e64 v21, s0, v5, v21, s0
	v_mad_co_u64_u32 v[34:35], null, s19, v11, v[6:7]
	v_mad_co_u64_u32 v[35:36], null, s18, v39, 0
	v_dual_mov_b32 v6, v33 :: v_dual_add_nc_u32 v11, 0x762, v7
	v_add_co_u32 v25, s0, v0, v25
	s_delay_alu instid0(VALU_DEP_4) | instskip(NEXT) | instid1(VALU_DEP_3)
	v_mov_b32_e32 v31, v34
	v_mad_co_u64_u32 v[33:34], null, s19, v22, v[6:7]
	v_mov_b32_e32 v6, v36
	v_add_nc_u32_e32 v22, 0x843, v7
	v_mad_co_u64_u32 v[37:38], null, s18, v11, 0
	v_lshlrev_b64_e32 v[29:30], 2, v[30:31]
	s_delay_alu instid0(VALU_DEP_4) | instskip(NEXT) | instid1(VALU_DEP_4)
	v_mad_co_u64_u32 v[39:40], null, s19, v39, v[6:7]
	v_mad_co_u64_u32 v[40:41], null, s18, v22, 0
	s_wait_alu 0xf1ff
	v_add_co_ci_u32_e64 v26, s0, v5, v26, s0
	v_mov_b32_e32 v6, v38
	v_add_co_u32 v27, s0, v0, v27
	v_mov_b32_e32 v36, v39
	s_wait_alu 0xf1ff
	v_add_co_ci_u32_e64 v28, s0, v5, v28, s0
	v_mad_co_u64_u32 v[38:39], null, s19, v11, v[6:7]
	v_mov_b32_e32 v6, v41
	v_add_co_u32 v42, s0, v0, v29
	s_wait_alu 0xf1ff
	v_add_co_ci_u32_e64 v43, s0, v5, v30, s0
	v_lshlrev_b64_e32 v[29:30], 2, v[32:33]
	v_mad_co_u64_u32 v[31:32], null, s19, v22, v[6:7]
	v_lshlrev_b64_e32 v[32:33], 2, v[35:36]
                                        ; implicit-def: $vgpr22
	s_delay_alu instid0(VALU_DEP_3) | instskip(SKIP_1) | instid1(VALU_DEP_4)
	v_add_co_u32 v44, s0, v0, v29
	s_wait_alu 0xf1ff
	v_add_co_ci_u32_e64 v45, s0, v5, v30, s0
	s_delay_alu instid0(VALU_DEP_4)
	v_mov_b32_e32 v41, v31
	v_lshlrev_b64_e32 v[29:30], 2, v[37:38]
	v_add_co_u32 v31, s0, v0, v32
	s_wait_alu 0xf1ff
	v_add_co_ci_u32_e64 v32, s0, v5, v33, s0
	v_lshlrev_b64_e32 v[33:34], 2, v[40:41]
	s_delay_alu instid0(VALU_DEP_4) | instskip(SKIP_2) | instid1(VALU_DEP_3)
	v_add_co_u32 v36, s0, v0, v29
	s_wait_alu 0xf1ff
	v_add_co_ci_u32_e64 v37, s0, v5, v30, s0
                                        ; implicit-def: $vgpr30
	v_add_co_u32 v33, s0, v0, v33
	s_wait_alu 0xf1ff
	v_add_co_ci_u32_e64 v34, s0, v5, v34, s0
	s_clause 0xb
	global_load_b32 v29, v[14:15], off
	global_load_b32 v68, v[18:19], off
	global_load_b32 v35, v[23:24], off
	global_load_b32 v11, v[16:17], off
	global_load_b32 v19, v[20:21], off
	global_load_b32 v51, v[25:26], off
	global_load_b32 v16, v[27:28], off
	global_load_b32 v50, v[42:43], off
	global_load_b32 v15, v[44:45], off
	global_load_b32 v47, v[31:32], off
	global_load_b32 v18, v[36:37], off
	global_load_b32 v49, v[33:34], off
	v_cmp_gt_u32_e64 s0, 45, v7
                                        ; implicit-def: $vgpr14
                                        ; implicit-def: $vgpr17
                                        ; implicit-def: $vgpr27
                                        ; implicit-def: $vgpr32
                                        ; implicit-def: $vgpr20
                                        ; implicit-def: $vgpr28
                                        ; implicit-def: $vgpr21
                                        ; implicit-def: $vgpr26
                                        ; implicit-def: $vgpr31
                                        ; implicit-def: $vgpr25
                                        ; implicit-def: $vgpr33
                                        ; implicit-def: $vgpr23
                                        ; implicit-def: $vgpr24
	s_delay_alu instid0(VALU_DEP_1)
	s_and_saveexec_b32 s4, s0
	s_cbranch_execz .LBB0_14
; %bb.13:
	v_add_nc_u32_e32 v17, 0xb4, v7
	s_delay_alu instid0(VALU_DEP_1) | instskip(NEXT) | instid1(VALU_DEP_1)
	v_mad_co_u64_u32 v[20:21], null, s18, v17, 0
	v_mov_b32_e32 v6, v21
	s_delay_alu instid0(VALU_DEP_1) | instskip(SKIP_2) | instid1(VALU_DEP_3)
	v_mad_co_u64_u32 v[26:27], null, s19, v17, v[6:7]
	v_add_nc_u32_e32 v30, 0x195, v7
	v_add_nc_u32_e32 v17, 0x519, v7
	v_mov_b32_e32 v21, v26
	s_delay_alu instid0(VALU_DEP_3) | instskip(NEXT) | instid1(VALU_DEP_2)
	v_mad_co_u64_u32 v[22:23], null, s18, v30, 0
	v_lshlrev_b64_e32 v[20:21], 2, v[20:21]
	s_delay_alu instid0(VALU_DEP_2) | instskip(NEXT) | instid1(VALU_DEP_2)
	v_mov_b32_e32 v14, v23
	v_add_co_u32 v20, s0, v0, v20
	s_wait_alu 0xf1ff
	s_delay_alu instid0(VALU_DEP_3) | instskip(SKIP_3) | instid1(VALU_DEP_2)
	v_add_co_ci_u32_e64 v21, s0, v5, v21, s0
	s_wait_loadcnt 0x3
	v_mad_co_u64_u32 v[30:31], null, s19, v30, v[14:15]
	v_add_nc_u32_e32 v32, 0x276, v7
	v_dual_mov_b32 v23, v30 :: v_dual_add_nc_u32 v14, 0x438, v7
	s_delay_alu instid0(VALU_DEP_2) | instskip(NEXT) | instid1(VALU_DEP_2)
	v_mad_co_u64_u32 v[24:25], null, s18, v32, 0
	v_lshlrev_b64_e32 v[22:23], 2, v[22:23]
	s_delay_alu instid0(VALU_DEP_2) | instskip(NEXT) | instid1(VALU_DEP_2)
	v_mov_b32_e32 v6, v25
	v_add_co_u32 v22, s0, v0, v22
	s_wait_alu 0xf1ff
	s_delay_alu instid0(VALU_DEP_3) | instskip(NEXT) | instid1(VALU_DEP_3)
	v_add_co_ci_u32_e64 v23, s0, v5, v23, s0
	v_mad_co_u64_u32 v[31:32], null, s19, v32, v[6:7]
	v_add_nc_u32_e32 v34, 0x357, v7
	v_mad_co_u64_u32 v[32:33], null, s18, v14, 0
	s_delay_alu instid0(VALU_DEP_3) | instskip(NEXT) | instid1(VALU_DEP_3)
	v_mov_b32_e32 v25, v31
	v_mad_co_u64_u32 v[27:28], null, s18, v34, 0
	s_delay_alu instid0(VALU_DEP_2) | instskip(NEXT) | instid1(VALU_DEP_2)
	v_lshlrev_b64_e32 v[24:25], 2, v[24:25]
	v_mov_b32_e32 v6, v28
	s_delay_alu instid0(VALU_DEP_2) | instskip(SKIP_1) | instid1(VALU_DEP_3)
	v_add_co_u32 v24, s0, v0, v24
	s_wait_alu 0xf1ff
	v_add_co_ci_u32_e64 v25, s0, v5, v25, s0
	s_delay_alu instid0(VALU_DEP_3) | instskip(SKIP_1) | instid1(VALU_DEP_1)
	v_mad_co_u64_u32 v[36:37], null, s19, v34, v[6:7]
	v_mov_b32_e32 v6, v33
	v_mad_co_u64_u32 v[30:31], null, s19, v14, v[6:7]
	s_delay_alu instid0(VALU_DEP_3) | instskip(SKIP_2) | instid1(VALU_DEP_3)
	v_mov_b32_e32 v28, v36
	v_mad_co_u64_u32 v[36:37], null, s18, v17, 0
	v_add_nc_u32_e32 v14, 0x5fa, v7
	v_lshlrev_b64_e32 v[26:27], 2, v[27:28]
	v_dual_mov_b32 v33, v30 :: v_dual_add_nc_u32 v28, 0x6db, v7
	s_delay_alu instid0(VALU_DEP_3) | instskip(SKIP_1) | instid1(VALU_DEP_4)
	v_mad_co_u64_u32 v[30:31], null, s18, v14, 0
	v_mov_b32_e32 v6, v37
	v_add_co_u32 v26, s0, v0, v26
	s_wait_alu 0xf1ff
	v_add_co_ci_u32_e64 v27, s0, v5, v27, s0
	s_delay_alu instid0(VALU_DEP_3) | instskip(SKIP_3) | instid1(VALU_DEP_4)
	v_mad_co_u64_u32 v[37:38], null, s19, v17, v[6:7]
	v_mad_co_u64_u32 v[38:39], null, s18, v28, 0
	v_dual_mov_b32 v6, v31 :: v_dual_add_nc_u32 v17, 0x7bc, v7
	v_lshlrev_b64_e32 v[31:32], 2, v[32:33]
	v_lshlrev_b64_e32 v[36:37], 2, v[36:37]
	s_delay_alu instid0(VALU_DEP_3) | instskip(SKIP_4) | instid1(VALU_DEP_4)
	v_mad_co_u64_u32 v[33:34], null, s19, v14, v[6:7]
	v_mov_b32_e32 v6, v39
	v_add_nc_u32_e32 v14, 0x89d, v7
	v_mad_co_u64_u32 v[40:41], null, s18, v17, 0
	v_add_co_u32 v52, s0, v0, v31
	v_mad_co_u64_u32 v[42:43], null, s19, v28, v[6:7]
	s_delay_alu instid0(VALU_DEP_4) | instskip(NEXT) | instid1(VALU_DEP_4)
	v_mad_co_u64_u32 v[43:44], null, s18, v14, 0
	v_mov_b32_e32 v6, v41
	s_wait_alu 0xf1ff
	v_add_co_ci_u32_e64 v53, s0, v5, v32, s0
	v_mov_b32_e32 v31, v33
	v_mov_b32_e32 v39, v42
	v_mad_co_u64_u32 v[32:33], null, s19, v17, v[6:7]
	v_mov_b32_e32 v6, v44
	v_add_co_u32 v33, s0, v0, v36
	s_wait_alu 0xf1ff
	v_add_co_ci_u32_e64 v34, s0, v5, v37, s0
	s_delay_alu instid0(VALU_DEP_3) | instskip(SKIP_3) | instid1(VALU_DEP_4)
	v_mad_co_u64_u32 v[36:37], null, s19, v14, v[6:7]
	v_mov_b32_e32 v41, v32
	v_lshlrev_b64_e32 v[30:31], 2, v[30:31]
	v_lshlrev_b64_e32 v[37:38], 2, v[38:39]
	v_mov_b32_e32 v44, v36
	s_delay_alu instid0(VALU_DEP_3) | instskip(SKIP_1) | instid1(VALU_DEP_4)
	v_add_co_u32 v54, s0, v0, v30
	s_wait_alu 0xf1ff
	v_add_co_ci_u32_e64 v55, s0, v5, v31, s0
	v_lshlrev_b64_e32 v[30:31], 2, v[40:41]
	v_add_co_u32 v36, s0, v0, v37
	s_wait_alu 0xf1ff
	v_add_co_ci_u32_e64 v37, s0, v5, v38, s0
	v_lshlrev_b64_e32 v[38:39], 2, v[43:44]
	s_delay_alu instid0(VALU_DEP_4) | instskip(SKIP_2) | instid1(VALU_DEP_3)
	v_add_co_u32 v40, s0, v0, v30
	s_wait_alu 0xf1ff
	v_add_co_ci_u32_e64 v41, s0, v5, v31, s0
	v_add_co_u32 v38, s0, v0, v38
	s_wait_alu 0xf1ff
	v_add_co_ci_u32_e64 v39, s0, v5, v39, s0
	s_clause 0x9
	global_load_b32 v48, v[20:21], off
	global_load_b32 v17, v[22:23], off
	;; [unrolled: 1-line block ×10, first 2 shown]
	s_wait_loadcnt 0x9
	v_lshrrev_b32_e32 v14, 16, v48
	s_wait_loadcnt 0x8
	v_lshrrev_b32_e32 v27, 16, v17
	;; [unrolled: 2-line block ×10, first 2 shown]
.LBB0_14:
	s_wait_alu 0xfffe
	s_or_b32 exec_lo, exec_lo, s4
	s_wait_loadcnt 0x13
	v_lshrrev_b32_e32 v45, 16, v46
	s_wait_loadcnt 0x12
	v_lshrrev_b32_e32 v64, 16, v9
	;; [unrolled: 2-line block ×20, first 2 shown]
.LBB0_15:
	s_or_b32 exec_lo, exec_lo, s1
	v_add_f16_e32 v0, v10, v12
	v_sub_f16_e32 v69, v62, v59
	v_add_f16_e32 v5, v13, v46
	v_sub_f16_e32 v6, v61, v60
	v_sub_f16_e32 v70, v13, v12
	v_fma_f16 v0, -0.5, v0, v46
	v_sub_f16_e32 v71, v29, v10
	v_add_f16_e32 v72, v29, v13
	v_sub_f16_e32 v73, v12, v13
	v_sub_f16_e32 v75, v10, v29
	v_fmamk_f16 v74, v69, 0xbb9c, v0
	v_fmac_f16_e32 v0, 0x3b9c, v69
	v_add_f16_e32 v5, v12, v5
	v_fmac_f16_e32 v46, -0.5, v72
	v_add_f16_e32 v70, v71, v70
	v_fmac_f16_e32 v74, 0xb8b4, v6
	v_fmac_f16_e32 v0, 0x38b4, v6
	v_add_f16_e32 v73, v75, v73
	v_add_f16_e32 v75, v67, v9
	;; [unrolled: 1-line block ×3, first 2 shown]
	v_fmamk_f16 v71, v6, 0x3b9c, v46
	v_add_f16_e32 v72, v65, v66
	v_fmac_f16_e32 v74, 0x34f2, v70
	v_fmac_f16_e32 v0, 0x34f2, v70
	;; [unrolled: 1-line block ×3, first 2 shown]
	v_add_f16_e32 v70, v66, v75
	v_add_f16_e32 v76, v29, v5
	v_fmac_f16_e32 v71, 0xb8b4, v69
	v_fma_f16 v5, -0.5, v72, v9
	v_sub_f16_e32 v72, v63, v55
	v_sub_f16_e32 v77, v67, v66
	;; [unrolled: 1-line block ×3, first 2 shown]
	v_fmac_f16_e32 v46, 0x38b4, v69
	v_add_f16_e32 v69, v65, v70
	v_add_f16_e32 v70, v68, v67
	v_fmac_f16_e32 v71, 0x34f2, v73
	v_fmamk_f16 v6, v72, 0xbb9c, v5
	v_sub_f16_e32 v75, v58, v57
	v_add_f16_e32 v77, v78, v77
	v_fmac_f16_e32 v46, 0x34f2, v73
	v_fmac_f16_e32 v5, 0x3b9c, v72
	v_fmac_f16_e32 v9, -0.5, v70
	v_add_f16_e32 v69, v68, v69
	v_add_f16_e32 v70, v57, v58
	v_sub_f16_e32 v73, v66, v67
	v_sub_f16_e32 v78, v65, v68
	;; [unrolled: 1-line block ×3, first 2 shown]
	v_add_f16_e32 v68, v55, v63
	v_fmac_f16_e32 v6, 0xb8b4, v75
	v_fmac_f16_e32 v5, 0x38b4, v75
	v_fma_f16 v81, -0.5, v70, v64
	v_sub_f16_e32 v65, v66, v65
	v_fma_f16 v84, -0.5, v68, v64
	v_fmac_f16_e32 v6, 0x34f2, v77
	v_add_f16_e32 v70, v78, v73
	v_fmac_f16_e32 v5, 0x34f2, v77
	v_fmamk_f16 v83, v67, 0x3b9c, v81
	v_sub_f16_e32 v66, v63, v58
	v_sub_f16_e32 v68, v55, v57
	v_fmamk_f16 v85, v65, 0xbb9c, v84
	v_sub_f16_e32 v73, v58, v63
	v_sub_f16_e32 v77, v57, v55
	v_fmac_f16_e32 v84, 0x3b9c, v65
	v_fmamk_f16 v82, v75, 0x3b9c, v9
	v_fmac_f16_e32 v83, 0x38b4, v65
	v_add_f16_e32 v66, v68, v66
	v_fmac_f16_e32 v81, 0xbb9c, v67
	v_fmac_f16_e32 v85, 0x38b4, v67
	v_add_f16_e32 v68, v77, v73
	v_fmac_f16_e32 v9, 0xbb9c, v75
	v_fmac_f16_e32 v84, 0xb8b4, v67
	;; [unrolled: 1-line block ×10, first 2 shown]
	v_mul_f16_e32 v65, 0xb8b4, v83
	v_mul_f16_e32 v66, 0xbb9c, v85
	v_fmac_f16_e32 v9, 0x34f2, v70
	v_mul_f16_e32 v67, 0xbb9c, v84
	v_add_f16_e32 v75, v15, v16
	v_fmac_f16_e32 v65, 0x3a79, v6
	v_fmac_f16_e32 v66, 0x34f2, v82
	v_add_f16_e32 v70, v69, v76
	v_fmac_f16_e32 v67, 0xb4f2, v9
	v_sub_f16_e32 v69, v76, v69
	v_add_f16_e32 v76, v19, v35
	v_fma_f16 v75, -0.5, v75, v35
	v_sub_f16_e32 v79, v42, v39
	v_mul_f16_e32 v68, 0xb8b4, v81
	v_add_f16_e32 v72, v74, v65
	v_add_f16_e32 v73, v71, v66
	;; [unrolled: 1-line block ×3, first 2 shown]
	v_sub_f16_e32 v65, v74, v65
	v_sub_f16_e32 v66, v71, v66
	;; [unrolled: 1-line block ×3, first 2 shown]
	v_add_f16_e32 v67, v16, v76
	v_fmamk_f16 v71, v79, 0xbb9c, v75
	v_sub_f16_e32 v74, v41, v40
	v_sub_f16_e32 v76, v19, v16
	;; [unrolled: 1-line block ×3, first 2 shown]
	v_fmac_f16_e32 v75, 0x3b9c, v79
	v_add_f16_e32 v86, v18, v19
	v_fmac_f16_e32 v68, 0xba79, v5
	v_add_f16_e32 v67, v15, v67
	;; [unrolled: 2-line block ×3, first 2 shown]
	v_fmac_f16_e32 v75, 0x38b4, v74
	v_fmac_f16_e32 v35, -0.5, v86
	v_add_f16_e32 v78, v0, v68
	v_sub_f16_e32 v68, v0, v68
	v_add_f16_e32 v0, v18, v67
	v_fmac_f16_e32 v71, 0x34f2, v76
	v_fmac_f16_e32 v75, 0x34f2, v76
	v_fmamk_f16 v67, v74, 0x3b9c, v35
	v_sub_f16_e32 v76, v16, v19
	v_sub_f16_e32 v80, v15, v18
	v_fmac_f16_e32 v35, 0xbb9c, v74
	v_add_f16_e32 v74, v51, v11
	v_add_f16_e32 v86, v47, v50
	v_fmac_f16_e32 v67, 0xb8b4, v79
	v_add_f16_e32 v76, v80, v76
	v_fmac_f16_e32 v35, 0x38b4, v79
	v_add_f16_e32 v74, v50, v74
	v_fma_f16 v86, -0.5, v86, v11
	v_sub_f16_e32 v79, v43, v36
	v_fmac_f16_e32 v67, 0x34f2, v76
	v_fmac_f16_e32 v35, 0x34f2, v76
	v_add_f16_e32 v76, v49, v51
	v_sub_f16_e32 v88, v51, v50
	v_sub_f16_e32 v89, v49, v47
	v_add_f16_e32 v74, v47, v74
	v_fmamk_f16 v87, v79, 0xbb9c, v86
	v_sub_f16_e32 v80, v38, v37
	v_fmac_f16_e32 v11, -0.5, v76
	v_fmac_f16_e32 v86, 0x3b9c, v79
	v_add_f16_e32 v76, v89, v88
	v_sub_f16_e32 v89, v50, v51
	v_sub_f16_e32 v90, v47, v49
	v_add_f16_e32 v91, v37, v38
	v_add_f16_e32 v74, v49, v74
	v_fmac_f16_e32 v87, 0xb8b4, v80
	v_fmac_f16_e32 v86, 0x38b4, v80
	v_add_f16_e32 v93, v90, v89
	v_fma_f16 v89, -0.5, v91, v44
	v_sub_f16_e32 v49, v51, v49
	v_fmac_f16_e32 v87, 0x34f2, v76
	v_fmac_f16_e32 v86, 0x34f2, v76
	v_add_f16_e32 v76, v36, v43
	v_sub_f16_e32 v47, v50, v47
	v_fmamk_f16 v92, v49, 0x3b9c, v89
	v_sub_f16_e32 v50, v43, v38
	v_sub_f16_e32 v51, v36, v37
	v_fma_f16 v91, -0.5, v76, v44
	v_fmamk_f16 v88, v80, 0x3b9c, v11
	v_fmac_f16_e32 v92, 0x38b4, v47
	v_fmac_f16_e32 v11, 0xbb9c, v80
	v_add_f16_e32 v50, v51, v50
	v_fmamk_f16 v90, v47, 0xbb9c, v91
	v_sub_f16_e32 v76, v38, v43
	v_sub_f16_e32 v80, v37, v36
	v_fmac_f16_e32 v91, 0x3b9c, v47
	v_fmac_f16_e32 v89, 0xbb9c, v49
	;; [unrolled: 1-line block ×4, first 2 shown]
	v_add_f16_e32 v51, v80, v76
	v_fmac_f16_e32 v91, 0xb8b4, v49
	v_fmac_f16_e32 v89, 0xb8b4, v47
	v_mul_f16_e32 v47, 0xb8b4, v92
	v_add_f16_e32 v49, v31, v30
	v_fmac_f16_e32 v88, 0xb8b4, v79
	v_fmac_f16_e32 v11, 0x38b4, v79
	;; [unrolled: 1-line block ×6, first 2 shown]
	v_fma_f16 v50, -0.5, v49, v48
	v_sub_f16_e32 v49, v20, v23
	v_fmac_f16_e32 v88, 0x34f2, v93
	v_fmac_f16_e32 v11, 0x34f2, v93
	v_mul_f16_e32 v76, 0xbb9c, v90
	v_mul_f16_e32 v79, 0xbb9c, v91
	v_add_f16_e32 v80, v74, v0
	v_add_f16_e32 v98, v71, v47
	v_mul_f16_e32 v93, 0xb8b4, v89
	v_sub_f16_e32 v74, v0, v74
	v_sub_f16_e32 v71, v71, v47
	v_fmamk_f16 v0, v49, 0xbb9c, v50
	v_sub_f16_e32 v51, v21, v22
	v_sub_f16_e32 v47, v32, v30
	;; [unrolled: 1-line block ×3, first 2 shown]
	v_fmac_f16_e32 v50, 0x3b9c, v49
	v_fmac_f16_e32 v76, 0x34f2, v88
	;; [unrolled: 1-line block ×4, first 2 shown]
	v_add_f16_e32 v95, v53, v52
	v_fmac_f16_e32 v0, 0xb8b4, v51
	v_add_f16_e32 v47, v94, v47
	v_fmac_f16_e32 v50, 0x38b4, v51
	v_add_f16_e32 v97, v54, v56
	v_add_f16_e32 v101, v67, v76
	;; [unrolled: 1-line block ×4, first 2 shown]
	v_sub_f16_e32 v67, v67, v76
	v_fma_f16 v94, -0.5, v95, v17
	v_sub_f16_e32 v76, v28, v24
	v_sub_f16_e32 v79, v35, v79
	;; [unrolled: 1-line block ×6, first 2 shown]
	v_fmac_f16_e32 v0, 0x34f2, v47
	v_fmac_f16_e32 v50, 0x34f2, v47
	v_add_f16_e32 v47, v56, v17
	v_fmac_f16_e32 v17, -0.5, v97
	v_fmamk_f16 v95, v76, 0xbb9c, v94
	v_add_f16_e32 v35, v93, v35
	v_fmac_f16_e32 v94, 0x3b9c, v76
	v_sub_f16_e32 v97, v52, v56
	v_fmamk_f16 v93, v96, 0x3b9c, v17
	v_fmac_f16_e32 v17, 0xbb9c, v96
	v_fmac_f16_e32 v95, 0xb8b4, v96
	;; [unrolled: 1-line block ×3, first 2 shown]
	v_sub_f16_e32 v99, v53, v54
	v_add_f16_e32 v47, v52, v47
	v_fmac_f16_e32 v93, 0xb8b4, v76
	v_fmac_f16_e32 v17, 0x38b4, v76
	v_add_f16_e32 v76, v25, v26
	v_fmac_f16_e32 v95, 0x34f2, v35
	v_fmac_f16_e32 v94, 0x34f2, v35
	v_add_f16_e32 v35, v99, v97
	v_add_f16_e32 v47, v53, v47
	v_sub_f16_e32 v56, v56, v54
	v_sub_f16_e32 v96, v28, v26
	v_sub_f16_e32 v97, v24, v25
	v_add_f16_e32 v99, v24, v28
	v_fma_f16 v100, -0.5, v76, v27
	v_add_f16_e32 v54, v54, v47
	v_sub_f16_e32 v47, v52, v53
	v_add_f16_e32 v52, v97, v96
	v_fma_f16 v96, -0.5, v99, v27
	v_fmamk_f16 v99, v56, 0x3b9c, v100
	v_fmac_f16_e32 v100, 0xbb9c, v56
	v_sub_f16_e32 v53, v26, v28
	v_sub_f16_e32 v76, v25, v24
	v_fmamk_f16 v97, v47, 0xbb9c, v96
	v_fmac_f16_e32 v99, 0x38b4, v47
	v_fmac_f16_e32 v96, 0x3b9c, v47
	;; [unrolled: 1-line block ×3, first 2 shown]
	v_add_f16_e32 v47, v76, v53
	v_add_f16_e32 v53, v32, v48
	v_fmac_f16_e32 v93, 0x34f2, v35
	v_fmac_f16_e32 v17, 0x34f2, v35
	;; [unrolled: 1-line block ×4, first 2 shown]
	v_add_f16_e32 v35, v30, v53
	v_fmac_f16_e32 v97, 0x38b4, v56
	v_fmac_f16_e32 v96, 0xb8b4, v56
	v_mul_f16_e32 v56, 0xb8b4, v100
	v_mul_f16_e32 v53, 0xb8b4, v99
	v_add_f16_e32 v35, v31, v35
	v_pack_b32_f16 v70, v70, v72
	v_pack_b32_f16 v65, v65, v66
	v_fmac_f16_e32 v56, 0xba79, v94
	v_fmac_f16_e32 v53, 0x3a79, v95
	v_add_f16_e32 v52, v33, v35
	v_pack_b32_f16 v66, v78, v69
	v_mul_u32_u24_e32 v69, 10, v7
	v_mul_i32_i24_e32 v72, 10, v8
	v_fmac_f16_e32 v97, 0x34f2, v47
	v_fmac_f16_e32 v96, 0x34f2, v47
	v_pack_b32_f16 v73, v73, v77
	v_add_f16_e32 v35, v50, v56
	v_pack_b32_f16 v68, v46, v68
	v_pack_b32_f16 v76, v101, v102
	v_sub_f16_e32 v46, v52, v54
	v_pack_b32_f16 v77, v80, v98
	v_sub_f16_e32 v47, v0, v53
	v_lshl_add_u32 v101, v69, 1, 0
	v_lshl_add_u32 v98, v72, 1, 0
	v_cmp_gt_u32_e64 s1, 45, v7
	v_pack_b32_f16 v67, v71, v67
	v_pack_b32_f16 v69, v103, v74
	;; [unrolled: 1-line block ×3, first 2 shown]
	ds_store_2addr_b32 v101, v70, v73 offset1:1
	ds_store_2addr_b32 v101, v66, v65 offset0:2 offset1:3
	ds_store_b32 v101, v68 offset:16
	ds_store_2addr_b32 v98, v77, v76 offset1:1
	ds_store_2addr_b32 v98, v69, v67 offset0:2 offset1:3
	ds_store_b32 v98, v71 offset:16
	s_and_saveexec_b32 s0, s1
	s_cbranch_execz .LBB0_17
; %bb.16:
	v_add_f16_e32 v65, v33, v32
	v_sub_f16_e32 v66, v31, v33
	v_sub_f16_e32 v50, v50, v56
	v_mul_f16_e32 v56, 0xbb9c, v97
	v_add_f16_e32 v0, v0, v53
	v_fmac_f16_e32 v48, -0.5, v65
	v_sub_f16_e32 v65, v30, v32
	v_add_nc_u32_e32 v53, 0xe18, v101
	v_fmac_f16_e32 v56, 0x34f2, v93
	s_delay_alu instid0(VALU_DEP_4) | instskip(SKIP_3) | instid1(VALU_DEP_4)
	v_fmamk_f16 v67, v51, 0xbb9c, v48
	v_fmac_f16_e32 v48, 0x3b9c, v51
	v_add_f16_e32 v65, v66, v65
	v_mul_f16_e32 v51, 0xbb9c, v96
	v_fmac_f16_e32 v67, 0x38b4, v49
	s_delay_alu instid0(VALU_DEP_4) | instskip(SKIP_1) | instid1(VALU_DEP_4)
	v_fmac_f16_e32 v48, 0xb8b4, v49
	v_add_f16_e32 v49, v54, v52
	v_fmac_f16_e32 v51, 0xb4f2, v17
	v_add_nc_u32_e32 v52, 0xe10, v101
	v_fmac_f16_e32 v67, 0x34f2, v65
	v_fmac_f16_e32 v48, 0x34f2, v65
	v_pack_b32_f16 v0, v49, v0
	s_delay_alu instid0(VALU_DEP_3) | instskip(NEXT) | instid1(VALU_DEP_3)
	v_add_f16_e32 v65, v67, v51
	v_sub_f16_e32 v54, v48, v56
	v_add_f16_e32 v48, v48, v56
	v_sub_f16_e32 v51, v67, v51
	v_perm_b32 v56, v46, v35, 0x5040100
	s_delay_alu instid0(VALU_DEP_4) | instskip(NEXT) | instid1(VALU_DEP_4)
	v_perm_b32 v49, v54, v47, 0x5040100
	v_pack_b32_f16 v48, v48, v65
	s_delay_alu instid0(VALU_DEP_4)
	v_pack_b32_f16 v50, v51, v50
	ds_store_2addr_b32 v53, v56, v49 offset1:1
	ds_store_2addr_b32 v52, v0, v48 offset1:1
	ds_store_b32 v101, v50 offset:3616
.LBB0_17:
	s_wait_alu 0xfffe
	s_or_b32 exec_lo, exec_lo, s0
	v_mad_i32_i24 v0, 0xffffffee, v7, v101
	v_mad_i32_i24 v56, 0xffffffee, v8, v98
	global_wb scope:SCOPE_SE
	s_wait_dscnt 0x0
	s_wait_kmcnt 0x0
	s_barrier_signal -1
	s_barrier_wait -1
	global_inv scope:SCOPE_SE
	ds_load_u16 v53, v0
	ds_load_u16 v48, v0 offset:360
	ds_load_u16 v49, v0 offset:540
	ds_load_u16 v50, v0 offset:720
	ds_load_u16 v51, v0 offset:900
	ds_load_u16 v52, v0 offset:1080
	ds_load_u16 v76, v0 offset:1680
	ds_load_u16 v75, v0 offset:1860
	ds_load_u16 v72, v0 offset:2040
	ds_load_u16 v68, v0 offset:2220
	ds_load_u16 v66, v0 offset:2400
	ds_load_u16 v65, v0 offset:2580
	ds_load_u16 v78, v0 offset:3180
	ds_load_u16 v77, v0 offset:3360
	ds_load_u16 v74, v0 offset:3540
	ds_load_u16 v73, v0 offset:3720
	ds_load_u16 v71, v0 offset:3900
	ds_load_u16 v67, v0 offset:4080
	ds_load_u16 v79, v0 offset:1500
	ds_load_u16 v54, v0 offset:1260
	ds_load_u16 v80, v0 offset:3000
	ds_load_u16 v69, v0 offset:2760
	ds_load_u16 v56, v56
	ds_load_u16 v70, v0 offset:4260
	v_cmp_gt_u32_e64 s0, 30, v7
	s_delay_alu instid0(VALU_DEP_1)
	s_and_saveexec_b32 s4, s0
	s_cbranch_execz .LBB0_19
; %bb.18:
	ds_load_u16 v35, v0 offset:1440
	ds_load_u16 v46, v0 offset:2940
	;; [unrolled: 1-line block ×3, first 2 shown]
.LBB0_19:
	s_wait_alu 0xfffe
	s_or_b32 exec_lo, exec_lo, s4
	v_add_f16_e32 v102, v62, v45
	v_add_f16_e32 v103, v60, v61
	v_sub_f16_e32 v12, v12, v10
	v_add_f16_e32 v104, v59, v62
	v_sub_f16_e32 v13, v13, v29
	v_add_f16_e32 v10, v61, v102
	v_fma_f16 v29, -0.5, v103, v45
	v_sub_f16_e32 v102, v62, v61
	v_sub_f16_e32 v103, v59, v60
	v_fmac_f16_e32 v45, -0.5, v104
	v_add_f16_e32 v105, v60, v10
	v_fmamk_f16 v106, v13, 0x3b9c, v29
	v_fmac_f16_e32 v29, 0xbb9c, v13
	v_add_f16_e32 v102, v103, v102
	v_add_f16_e32 v63, v63, v64
	;; [unrolled: 1-line block ×3, first 2 shown]
	v_fmamk_f16 v64, v12, 0xbb9c, v45
	v_sub_f16_e32 v61, v61, v62
	v_sub_f16_e32 v59, v60, v59
	v_fmac_f16_e32 v45, 0x3b9c, v12
	v_fmac_f16_e32 v106, 0x38b4, v12
	;; [unrolled: 1-line block ×3, first 2 shown]
	v_add_f16_e32 v58, v58, v63
	v_fmac_f16_e32 v64, 0x38b4, v13
	v_add_f16_e32 v12, v59, v61
	v_fmac_f16_e32 v45, 0xb8b4, v13
	v_fmac_f16_e32 v29, 0x34f2, v102
	v_add_f16_e32 v57, v57, v58
	v_mul_f16_e32 v58, 0x3a79, v81
	v_fmac_f16_e32 v64, 0x34f2, v12
	v_fmac_f16_e32 v45, 0x34f2, v12
	v_mul_f16_e32 v12, 0x34f2, v84
	v_mul_f16_e32 v6, 0x38b4, v6
	v_fma_f16 v5, v5, 0x38b4, -v58
	v_add_f16_e32 v13, v55, v57
	v_add_f16_e32 v61, v42, v34
	v_fma_f16 v9, v9, 0x3b9c, -v12
	v_add_f16_e32 v12, v40, v41
	v_add_f16_e32 v63, v29, v5
	v_sub_f16_e32 v29, v29, v5
	v_add_f16_e32 v5, v43, v44
	v_sub_f16_e32 v15, v16, v15
	v_fma_f16 v62, -0.5, v12, v34
	v_sub_f16_e32 v12, v19, v18
	v_add_f16_e32 v19, v39, v42
	v_sub_f16_e32 v16, v42, v41
	v_sub_f16_e32 v18, v39, v40
	v_add_f16_e32 v5, v38, v5
	v_fmac_f16_e32 v106, 0x34f2, v102
	v_fmac_f16_e32 v34, -0.5, v19
	v_fmac_f16_e32 v6, 0x3a79, v83
	v_add_f16_e32 v57, v13, v103
	v_add_f16_e32 v58, v45, v9
	v_sub_f16_e32 v81, v103, v13
	v_fmamk_f16 v13, v12, 0x3b9c, v62
	v_add_f16_e32 v16, v18, v16
	v_sub_f16_e32 v45, v45, v9
	v_fmac_f16_e32 v62, 0xbb9c, v12
	v_fmamk_f16 v18, v15, 0xbb9c, v34
	v_sub_f16_e32 v9, v41, v42
	v_sub_f16_e32 v19, v40, v39
	v_fmac_f16_e32 v34, 0x3b9c, v15
	v_add_f16_e32 v5, v37, v5
	v_mul_f16_e32 v55, 0x3b9c, v82
	v_add_f16_e32 v59, v106, v6
	v_sub_f16_e32 v82, v106, v6
	v_add_f16_e32 v6, v41, v61
	v_fmac_f16_e32 v13, 0x38b4, v15
	v_fmac_f16_e32 v62, 0xb8b4, v15
	;; [unrolled: 1-line block ×3, first 2 shown]
	v_add_f16_e32 v9, v19, v9
	v_fmac_f16_e32 v34, 0xb8b4, v12
	v_add_f16_e32 v15, v36, v5
	v_mul_f16_e32 v5, 0x34f2, v91
	v_add_f16_e32 v6, v40, v6
	v_mul_f16_e32 v12, 0x38b4, v87
	v_fmac_f16_e32 v18, 0x34f2, v9
	v_fmac_f16_e32 v34, 0x34f2, v9
	v_mul_f16_e32 v9, 0x3a79, v89
	v_fma_f16 v19, v11, 0x3b9c, -v5
	v_add_f16_e32 v5, v20, v14
	v_add_f16_e32 v6, v39, v6
	v_fmac_f16_e32 v13, 0x34f2, v16
	v_fmac_f16_e32 v62, 0x34f2, v16
	;; [unrolled: 1-line block ×3, first 2 shown]
	v_mul_f16_e32 v16, 0x3b9c, v88
	v_fma_f16 v38, v86, 0x38b4, -v9
	v_add_f16_e32 v9, v22, v21
	v_add_f16_e32 v11, v21, v5
	;; [unrolled: 1-line block ×4, first 2 shown]
	v_fmac_f16_e32 v16, 0x34f2, v90
	v_fma_f16 v5, -0.5, v9, v14
	v_sub_f16_e32 v9, v32, v33
	v_sub_f16_e32 v32, v6, v15
	;; [unrolled: 1-line block ×3, first 2 shown]
	v_add_f16_e32 v6, v22, v11
	v_add_f16_e32 v13, v28, v27
	;; [unrolled: 1-line block ×3, first 2 shown]
	v_sub_f16_e32 v42, v18, v16
	v_fmamk_f16 v11, v9, 0x3b9c, v5
	v_sub_f16_e32 v12, v30, v31
	v_sub_f16_e32 v15, v20, v21
	;; [unrolled: 1-line block ×3, first 2 shown]
	v_fmac_f16_e32 v5, 0xbb9c, v9
	v_add_f16_e32 v18, v23, v6
	v_add_f16_e32 v6, v26, v13
	v_fmac_f16_e32 v55, 0x34f2, v85
	v_fmac_f16_e32 v11, 0x38b4, v12
	v_add_f16_e32 v13, v16, v15
	v_fmac_f16_e32 v5, 0xb8b4, v12
	v_mul_f16_e32 v15, 0x3a79, v100
	v_add_f16_e32 v6, v25, v6
	v_mul_f16_e32 v25, 0x38b4, v95
	v_add_f16_e32 v60, v64, v55
	v_fmac_f16_e32 v11, 0x34f2, v13
	v_fmac_f16_e32 v5, 0x34f2, v13
	v_fma_f16 v13, v94, 0x38b4, -v15
	v_add_f16_e32 v24, v24, v6
	v_fmac_f16_e32 v25, 0x3a79, v99
	v_sub_f16_e32 v55, v64, v55
	v_add_f16_e32 v40, v34, v19
	v_add_f16_e32 v41, v62, v38
	v_mul_i32_i24_e32 v10, 0xffffffee, v8
	v_sub_f16_e32 v26, v34, v19
	v_sub_f16_e32 v27, v62, v38
	v_add_f16_e32 v19, v5, v13
	v_sub_f16_e32 v16, v18, v24
	v_sub_f16_e32 v15, v11, v25
	v_add_nc_u32_e32 v6, 0xb4, v7
	v_pack_b32_f16 v28, v60, v58
	v_pack_b32_f16 v30, v57, v59
	;; [unrolled: 1-line block ×9, first 2 shown]
	global_wb scope:SCOPE_SE
	s_wait_dscnt 0x0
	s_barrier_signal -1
	s_barrier_wait -1
	global_inv scope:SCOPE_SE
	v_pack_b32_f16 v26, v26, v27
	ds_store_2addr_b32 v101, v30, v28 offset1:1
	ds_store_2addr_b32 v101, v34, v31 offset0:2 offset1:3
	ds_store_b32 v101, v29 offset:16
	ds_store_2addr_b32 v98, v36, v38 offset1:1
	ds_store_2addr_b32 v98, v32, v33 offset0:2 offset1:3
	ds_store_b32 v98, v26 offset:16
	s_and_saveexec_b32 s4, s1
	s_cbranch_execz .LBB0_21
; %bb.20:
	v_add_f16_e32 v26, v23, v20
	v_sub_f16_e32 v20, v21, v20
	v_sub_f16_e32 v21, v22, v23
	v_mul_f16_e32 v23, 0x34f2, v96
	v_add_f16_e32 v18, v24, v18
	v_fmac_f16_e32 v14, -0.5, v26
	v_sub_f16_e32 v5, v5, v13
	v_add_f16_e32 v20, v21, v20
	v_mul_u32_u24_e32 v13, 10, v6
	s_delay_alu instid0(VALU_DEP_4) | instskip(SKIP_2) | instid1(VALU_DEP_4)
	v_fmamk_f16 v22, v12, 0xbb9c, v14
	v_fmac_f16_e32 v14, 0x3b9c, v12
	v_mul_f16_e32 v12, 0x3b9c, v93
	v_lshl_add_u32 v13, v13, 1, 0
	s_delay_alu instid0(VALU_DEP_4) | instskip(NEXT) | instid1(VALU_DEP_4)
	v_fmac_f16_e32 v22, 0x38b4, v9
	v_fmac_f16_e32 v14, 0xb8b4, v9
	v_add_f16_e32 v9, v11, v25
	v_fmac_f16_e32 v12, 0x34f2, v97
	v_fma_f16 v11, v17, 0x3b9c, -v23
	v_fmac_f16_e32 v22, 0x34f2, v20
	v_fmac_f16_e32 v14, 0x34f2, v20
	v_pack_b32_f16 v9, v18, v9
	v_perm_b32 v17, v16, v19, 0x5040100
	s_delay_alu instid0(VALU_DEP_4) | instskip(NEXT) | instid1(VALU_DEP_4)
	v_add_f16_e32 v20, v22, v12
	v_add_f16_e32 v21, v14, v11
	v_sub_f16_e32 v12, v22, v12
	v_sub_f16_e32 v11, v14, v11
	s_delay_alu instid0(VALU_DEP_3) | instskip(NEXT) | instid1(VALU_DEP_3)
	v_pack_b32_f16 v14, v20, v21
	v_perm_b32 v12, v12, v15, 0x5040100
	s_delay_alu instid0(VALU_DEP_3)
	v_pack_b32_f16 v5, v11, v5
	ds_store_2addr_b32 v13, v9, v14 offset1:1
	ds_store_2addr_b32 v13, v17, v12 offset0:2 offset1:3
	ds_store_b32 v13, v5 offset:16
.LBB0_21:
	s_wait_alu 0xfffe
	s_or_b32 exec_lo, exec_lo, s4
	global_wb scope:SCOPE_SE
	s_wait_dscnt 0x0
	s_barrier_signal -1
	s_barrier_wait -1
	global_inv scope:SCOPE_SE
	v_add_nc_u32_e32 v5, v98, v10
	ds_load_u16 v30, v0
	ds_load_u16 v25, v0 offset:360
	ds_load_u16 v26, v0 offset:540
	;; [unrolled: 1-line block ×21, first 2 shown]
	ds_load_u16 v37, v5
	ds_load_u16 v36, v0 offset:4260
	s_and_saveexec_b32 s1, s0
	s_cbranch_execz .LBB0_23
; %bb.22:
	ds_load_u16 v19, v0 offset:1440
	ds_load_u16 v16, v0 offset:2940
	;; [unrolled: 1-line block ×3, first 2 shown]
.LBB0_23:
	s_wait_alu 0xfffe
	s_or_b32 exec_lo, exec_lo, s1
	v_add_nc_u32_e32 v9, 0x10e, v7
	v_and_b32_e32 v24, 0xff, v7
	v_and_b32_e32 v23, 0xff, v8
	v_and_b32_e32 v22, 0xffff, v6
	v_add_nc_u32_e32 v10, 0x168, v7
	v_and_b32_e32 v20, 0xffff, v9
	v_mul_lo_u16 v13, 0xcd, v24
	v_mul_lo_u16 v14, 0xcd, v23
	v_mul_u32_u24_e32 v21, 0xcccd, v22
	v_add_nc_u32_e32 v11, 0x1c2, v7
	v_mul_u32_u24_e32 v58, 0xcccd, v20
	v_lshrrev_b16 v59, 11, v13
	v_lshrrev_b16 v62, 11, v14
	v_lshrrev_b32_e32 v63, 19, v21
	v_add_nc_u32_e32 v12, 0x21c, v7
	v_lshrrev_b32_e32 v58, 19, v58
	v_mul_lo_u16 v21, v59, 10
	v_mul_lo_u16 v60, v62, 10
	;; [unrolled: 1-line block ×3, first 2 shown]
	v_add_nc_u32_e32 v13, 0x276, v7
	v_mul_lo_u16 v64, v58, 10
	v_sub_nc_u16 v81, v7, v21
	v_sub_nc_u16 v60, v8, v60
	;; [unrolled: 1-line block ×3, first 2 shown]
	v_and_b32_e32 v21, 0xffff, v10
	v_sub_nc_u16 v64, v9, v64
	v_and_b32_e32 v81, 0xff, v81
	v_and_b32_e32 v82, 0xff, v60
	;; [unrolled: 1-line block ×5, first 2 shown]
	v_lshlrev_b32_e32 v60, 3, v81
	v_add_nc_u32_e32 v14, 0x2d0, v7
	v_lshlrev_b32_e32 v85, 3, v82
	v_lshlrev_b32_e32 v86, 3, v83
	;; [unrolled: 1-line block ×3, first 2 shown]
	v_and_b32_e32 v88, 0xffff, v12
	s_clause 0x3
	global_load_b64 v[60:61], v60, s[8:9]
	global_load_b64 v[94:95], v85, s[8:9]
	;; [unrolled: 1-line block ×4, first 2 shown]
	v_mul_u32_u24_e32 v85, 0xcccd, v21
	v_and_b32_e32 v86, 0xffff, v13
	v_mul_u32_u24_e32 v84, 0xcccd, v84
	v_and_b32_e32 v87, 0xffff, v14
	v_mul_u32_u24_e32 v88, 0xcccd, v88
	v_lshrrev_b32_e32 v85, 19, v85
	v_mul_u32_u24_e32 v86, 0xcccd, v86
	v_lshrrev_b32_e32 v84, 19, v84
	;; [unrolled: 2-line block ×3, first 2 shown]
	v_mul_lo_u16 v89, v85, 10
	v_lshrrev_b32_e32 v86, 19, v86
	v_mul_lo_u16 v90, v84, 10
	v_lshrrev_b32_e32 v87, 19, v87
	v_mul_lo_u16 v91, v88, 10
	v_sub_nc_u16 v89, v10, v89
	v_mul_lo_u16 v92, v86, 10
	v_sub_nc_u16 v90, v11, v90
	;; [unrolled: 2-line block ×3, first 2 shown]
	v_and_b32_e32 v89, 0xffff, v89
	v_sub_nc_u16 v92, v13, v92
	v_and_b32_e32 v90, 0xffff, v90
	v_sub_nc_u16 v93, v14, v93
	v_and_b32_e32 v91, 0xffff, v91
	v_lshlrev_b32_e32 v96, 3, v89
	v_and_b32_e32 v92, 0xffff, v92
	v_lshlrev_b32_e32 v103, 3, v90
	;; [unrolled: 2-line block ×3, first 2 shown]
	global_load_b64 v[101:102], v96, s[8:9]
	v_and_b32_e32 v59, 0xffff, v59
	global_load_b64 v[103:104], v103, s[8:9]
	v_lshlrev_b32_e32 v96, 3, v92
	v_lshlrev_b32_e32 v109, 3, v93
	s_clause 0x2
	global_load_b64 v[105:106], v105, s[8:9]
	global_load_b64 v[107:108], v96, s[8:9]
	;; [unrolled: 1-line block ×3, first 2 shown]
	v_and_b32_e32 v62, 0xffff, v62
	v_mul_u32_u24_e32 v96, 60, v63
	v_mul_u32_u24_e32 v59, 60, v59
	;; [unrolled: 1-line block ×5, first 2 shown]
	v_mul_lo_u16 v63, v87, 30
	v_lshlrev_b32_e32 v81, 1, v81
	v_lshlrev_b32_e32 v82, 1, v82
	;; [unrolled: 1-line block ×5, first 2 shown]
	v_mul_u32_u24_e32 v85, 60, v85
	v_mul_u32_u24_e32 v112, 60, v88
	;; [unrolled: 1-line block ×3, first 2 shown]
	v_lshlrev_b32_e32 v89, 1, v89
	v_lshlrev_b32_e32 v91, 1, v91
	;; [unrolled: 1-line block ×3, first 2 shown]
	v_add3_u32 v88, 0, v59, v81
	v_add3_u32 v86, 0, v62, v82
	v_add3_u32 v84, 0, v96, v83
	v_lshlrev_b32_e32 v64, 1, v93
	v_add3_u32 v87, 0, v58, v87
	v_add3_u32 v83, 0, v111, v90
	;; [unrolled: 1-line block ×5, first 2 shown]
	global_wb scope:SCOPE_SE
	s_wait_loadcnt_dscnt 0x0
	s_barrier_signal -1
	s_barrier_wait -1
	global_inv scope:SCOPE_SE
	v_lshrrev_b32_e32 v58, 16, v60
	v_lshrrev_b32_e32 v59, 16, v61
	;; [unrolled: 1-line block ×6, first 2 shown]
	v_mul_f16_e32 v91, v55, v58
	v_mul_f16_e32 v112, v79, v58
	;; [unrolled: 1-line block ×10, first 2 shown]
	v_lshrrev_b32_e32 v115, 16, v99
	v_mul_f16_e32 v62, v76, v62
	v_mul_f16_e32 v114, v75, v96
	v_lshrrev_b32_e32 v116, 16, v100
	v_fmac_f16_e32 v91, v79, v60
	v_fma_f16 v96, v55, v60, -v112
	v_fmac_f16_e32 v92, v80, v61
	v_fma_f16 v80, v57, v61, -v113
	v_fmac_f16_e32 v89, v76, v94
	v_fmac_f16_e32 v90, v78, v95
	v_fma_f16 v93, v45, v95, -v93
	v_fmac_f16_e32 v58, v75, v97
	v_fmac_f16_e32 v59, v77, v98
	v_fma_f16 v78, v44, v98, -v111
	v_mul_f16_e32 v76, v39, v115
	v_fma_f16 v94, v43, v94, -v62
	v_fma_f16 v79, v42, v97, -v114
	v_mul_f16_e32 v95, v72, v115
	v_lshrrev_b32_e32 v117, 16, v101
	v_lshrrev_b32_e32 v118, 16, v102
	;; [unrolled: 1-line block ×4, first 2 shown]
	v_mul_f16_e32 v77, v41, v116
	v_lshrrev_b32_e32 v121, 16, v105
	v_lshrrev_b32_e32 v122, 16, v106
	;; [unrolled: 1-line block ×6, first 2 shown]
	v_mul_f16_e32 v61, v33, v117
	v_mul_f16_e32 v75, v40, v118
	;; [unrolled: 1-line block ×20, first 2 shown]
	v_fmac_f16_e32 v76, v72, v99
	v_fmac_f16_e32 v61, v68, v101
	;; [unrolled: 1-line block ×5, first 2 shown]
	v_fma_f16 v65, v16, v109, -v118
	v_fmac_f16_e32 v45, v47, v110
	v_fma_f16 v66, v15, v110, -v119
	v_add_f16_e32 v15, v53, v91
	v_add_f16_e32 v16, v91, v92
	;; [unrolled: 1-line block ×4, first 2 shown]
	v_mul_f16_e32 v115, v67, v122
	v_fma_f16 v95, v39, v99, -v95
	v_fmac_f16_e32 v77, v74, v100
	v_fma_f16 v72, v41, v100, -v97
	v_fma_f16 v41, v33, v101, -v98
	v_fmac_f16_e32 v75, v73, v102
	v_fma_f16 v39, v40, v102, -v111
	;; [unrolled: 3-line block ×3, first 2 shown]
	v_fma_f16 v38, v17, v105, -v114
	v_fmac_f16_e32 v57, v67, v106
	v_fmac_f16_e32 v42, v69, v107
	v_fma_f16 v17, v34, v107, -v116
	v_fmac_f16_e32 v43, v70, v108
	v_fma_f16 v18, v36, v108, -v117
	v_sub_f16_e32 v34, v96, v80
	v_add_f16_e32 v36, v56, v89
	v_sub_f16_e32 v47, v94, v93
	v_add_f16_e32 v67, v48, v58
	;; [unrolled: 2-line block ×3, first 2 shown]
	v_fmac_f16_e32 v53, -0.5, v16
	v_fmac_f16_e32 v56, -0.5, v46
	;; [unrolled: 1-line block ×3, first 2 shown]
	v_add_f16_e32 v15, v49, v76
	v_add_f16_e32 v105, v44, v45
	v_fma_f16 v32, v32, v106, -v115
	v_add_f16_e32 v16, v76, v77
	v_add_f16_e32 v71, v61, v75
	;; [unrolled: 1-line block ×5, first 2 shown]
	v_sub_f16_e32 v106, v65, v66
	v_fmamk_f16 v107, v34, 0xbaee, v53
	v_fmac_f16_e32 v53, 0x3aee, v34
	v_fmamk_f16 v34, v47, 0xbaee, v56
	v_fmac_f16_e32 v56, 0x3aee, v47
	;; [unrolled: 2-line block ×3, first 2 shown]
	v_add_f16_e32 v69, v15, v77
	v_fma_f16 v15, -0.5, v105, v35
	v_add_f16_e32 v46, v67, v59
	v_sub_f16_e32 v67, v95, v72
	v_add_f16_e32 v68, v50, v61
	v_sub_f16_e32 v73, v41, v39
	;; [unrolled: 2-line block ×5, first 2 shown]
	v_fmac_f16_e32 v49, -0.5, v16
	v_fmac_f16_e32 v50, -0.5, v71
	;; [unrolled: 1-line block ×5, first 2 shown]
	v_fmamk_f16 v16, v106, 0xbaee, v15
	v_fmac_f16_e32 v15, 0x3aee, v106
	v_add_f16_e32 v36, v36, v90
	v_add_f16_e32 v68, v68, v75
	;; [unrolled: 1-line block ×5, first 2 shown]
	v_fmamk_f16 v99, v67, 0xbaee, v49
	v_fmac_f16_e32 v49, 0x3aee, v67
	v_fmamk_f16 v67, v73, 0xbaee, v50
	v_fmac_f16_e32 v50, 0x3aee, v73
	v_fmamk_f16 v73, v98, 0xbaee, v51
	v_fmac_f16_e32 v51, 0x3aee, v98
	v_fmamk_f16 v98, v101, 0xbaee, v52
	v_fmac_f16_e32 v52, 0x3aee, v101
	v_fmamk_f16 v100, v104, 0xbaee, v54
	v_fmac_f16_e32 v54, 0x3aee, v104
	ds_store_b16 v88, v70
	ds_store_b16 v88, v107 offset:20
	ds_store_b16 v88, v53 offset:40
	ds_store_b16 v86, v36
	ds_store_b16 v86, v34 offset:20
	ds_store_b16 v86, v56 offset:40
	;; [unrolled: 3-line block ×8, first 2 shown]
	s_and_saveexec_b32 s1, s0
	s_cbranch_execz .LBB0_25
; %bb.24:
	v_and_b32_e32 v34, 0xffff, v63
	v_add_f16_e32 v35, v35, v44
	s_delay_alu instid0(VALU_DEP_2) | instskip(NEXT) | instid1(VALU_DEP_2)
	v_lshlrev_b32_e32 v34, 1, v34
	v_add_f16_e32 v35, v35, v45
	s_delay_alu instid0(VALU_DEP_2)
	v_add3_u32 v34, 0, v64, v34
	ds_store_b16 v34, v35
	ds_store_b16 v34, v16 offset:20
	ds_store_b16 v34, v15 offset:40
.LBB0_25:
	s_wait_alu 0xfffe
	s_or_b32 exec_lo, exec_lo, s1
	v_add_f16_e32 v35, v30, v96
	v_add_f16_e32 v34, v96, v80
	v_sub_f16_e32 v36, v91, v92
	v_add_f16_e32 v46, v94, v93
	v_sub_f16_e32 v47, v89, v90
	v_add_f16_e32 v48, v35, v80
	v_add_f16_e32 v35, v25, v79
	v_fmac_f16_e32 v30, -0.5, v34
	v_add_f16_e32 v34, v37, v94
	v_fmac_f16_e32 v37, -0.5, v46
	global_wb scope:SCOPE_SE
	s_wait_dscnt 0x0
	v_add_f16_e32 v56, v35, v78
	v_add_f16_e32 v35, v26, v95
	v_fmamk_f16 v51, v36, 0x3aee, v30
	v_fmac_f16_e32 v30, 0xbaee, v36
	v_add_f16_e32 v52, v34, v93
	v_add_f16_e32 v34, v79, v78
	;; [unrolled: 1-line block ×5, first 2 shown]
	v_fmamk_f16 v53, v47, 0x3aee, v37
	v_fmac_f16_e32 v25, -0.5, v34
	v_sub_f16_e32 v34, v58, v59
	v_fmac_f16_e32 v26, -0.5, v36
	v_sub_f16_e32 v36, v76, v77
	v_add_f16_e32 v70, v35, v39
	v_add_f16_e32 v35, v28, v40
	v_fmamk_f16 v67, v34, 0x3aee, v25
	v_fmac_f16_e32 v25, 0xbaee, v34
	v_add_f16_e32 v34, v41, v39
	v_fmamk_f16 v69, v36, 0x3aee, v26
	v_fmac_f16_e32 v26, 0xbaee, v36
	v_add_f16_e32 v36, v40, v33
	v_add_f16_e32 v72, v35, v33
	;; [unrolled: 1-line block ×3, first 2 shown]
	v_fmac_f16_e32 v27, -0.5, v34
	v_sub_f16_e32 v34, v61, v75
	v_add_f16_e32 v39, v38, v32
	v_add_f16_e32 v35, v17, v18
	;; [unrolled: 1-line block ×4, first 2 shown]
	v_fmac_f16_e32 v28, -0.5, v36
	v_sub_f16_e32 v36, v60, v62
	v_fmamk_f16 v71, v34, 0x3aee, v27
	v_fmac_f16_e32 v27, 0xbaee, v34
	v_fmac_f16_e32 v29, -0.5, v39
	v_sub_f16_e32 v34, v55, v57
	v_add_f16_e32 v33, v31, v17
	v_fmac_f16_e32 v31, -0.5, v35
	v_sub_f16_e32 v35, v42, v43
	v_fma_f16 v17, -0.5, v32, v19
	v_sub_f16_e32 v32, v44, v45
	v_fmac_f16_e32 v37, 0xbaee, v47
	v_fmamk_f16 v73, v36, 0x3aee, v28
	v_fmac_f16_e32 v28, 0xbaee, v36
	v_fmamk_f16 v75, v34, 0x3aee, v29
	v_fmac_f16_e32 v29, 0xbaee, v34
	v_add_f16_e32 v76, v33, v18
	v_fmamk_f16 v77, v35, 0x3aee, v31
	v_fmac_f16_e32 v31, 0xbaee, v35
	v_fmamk_f16 v18, v32, 0x3aee, v17
	v_fmac_f16_e32 v17, 0xbaee, v32
	s_barrier_signal -1
	s_barrier_wait -1
	global_inv scope:SCOPE_SE
	ds_load_u16 v32, v5
	ds_load_u16 v39, v0 offset:2880
	ds_load_u16 v36, v0
	ds_load_u16 v33, v0 offset:360
	ds_load_u16 v34, v0 offset:540
	;; [unrolled: 1-line block ×22, first 2 shown]
	global_wb scope:SCOPE_SE
	s_wait_dscnt 0x0
	s_barrier_signal -1
	s_barrier_wait -1
	global_inv scope:SCOPE_SE
	ds_store_b16 v88, v48
	ds_store_b16 v88, v51 offset:20
	ds_store_b16 v88, v30 offset:40
	ds_store_b16 v86, v52
	ds_store_b16 v86, v53 offset:20
	ds_store_b16 v86, v37 offset:40
	;; [unrolled: 3-line block ×8, first 2 shown]
	s_and_saveexec_b32 s1, s0
	s_cbranch_execz .LBB0_27
; %bb.26:
	v_and_b32_e32 v25, 0xffff, v63
	v_add_f16_e32 v19, v19, v65
	s_delay_alu instid0(VALU_DEP_2) | instskip(NEXT) | instid1(VALU_DEP_2)
	v_lshlrev_b32_e32 v25, 1, v25
	v_add_f16_e32 v19, v19, v66
	s_delay_alu instid0(VALU_DEP_2)
	v_add3_u32 v25, 0, v64, v25
	ds_store_b16 v25, v19
	ds_store_b16 v25, v18 offset:20
	ds_store_b16 v25, v17 offset:40
.LBB0_27:
	s_wait_alu 0xfffe
	s_or_b32 exec_lo, exec_lo, s1
	v_mul_lo_u16 v19, 0x89, v24
	v_mul_lo_u16 v23, 0x89, v23
	v_mul_u32_u24_e32 v20, 0x8889, v20
	v_mul_u32_u24_e32 v21, 0x8889, v21
	global_wb scope:SCOPE_SE
	s_wait_dscnt 0x0
	v_lshrrev_b16 v24, 12, v19
	v_mul_u32_u24_e32 v19, 0x8889, v22
	v_lshrrev_b16 v23, 12, v23
	v_lshrrev_b32_e32 v30, 20, v20
	v_lshrrev_b32_e32 v48, 20, v21
	v_mul_lo_u16 v22, v24, 30
	v_lshrrev_b32_e32 v25, 20, v19
	v_mul_lo_u16 v19, v23, 30
	v_mul_lo_u16 v21, v30, 30
	;; [unrolled: 1-line block ×3, first 2 shown]
	v_sub_nc_u16 v22, v7, v22
	v_mul_lo_u16 v20, v25, 30
	v_sub_nc_u16 v19, v8, v19
	v_sub_nc_u16 v27, v9, v21
	;; [unrolled: 1-line block ×3, first 2 shown]
	v_and_b32_e32 v37, 0xff, v22
	v_sub_nc_u16 v20, v6, v20
	v_and_b32_e32 v51, 0xff, v19
	v_and_b32_e32 v53, 0xffff, v27
	;; [unrolled: 1-line block ×3, first 2 shown]
	v_lshlrev_b32_e32 v19, 4, v37
	v_and_b32_e32 v52, 0xffff, v20
	v_lshlrev_b32_e32 v28, 4, v51
	v_lshlrev_b32_e32 v26, 4, v53
	s_barrier_signal -1
	s_barrier_wait -1
	v_lshlrev_b32_e32 v27, 4, v52
	global_inv scope:SCOPE_SE
	s_clause 0x1
	global_load_b128 v[19:22], v19, s[8:9] offset:80
	global_load_b128 v[75:78], v28, s[8:9] offset:80
	v_and_b32_e32 v24, 0xffff, v24
	global_load_b128 v[95:98], v27, s[8:9] offset:80
	v_lshlrev_b32_e32 v27, 4, v56
	v_and_b32_e32 v23, 0xffff, v23
	s_clause 0x1
	global_load_b128 v[99:102], v26, s[8:9] offset:80
	global_load_b128 v[103:106], v27, s[8:9] offset:80
	ds_load_u16 v29, v5
	ds_load_u16 v85, v0 offset:2880
	ds_load_u16 v31, v0
	ds_load_u16 v27, v0 offset:360
	ds_load_u16 v26, v0 offset:540
	;; [unrolled: 1-line block ×22, first 2 shown]
	v_mul_u32_u24_e32 v25, 0x12c, v25
	v_mul_u32_u24_e32 v24, 0x12c, v24
	v_lshlrev_b32_e32 v37, 1, v37
	v_lshlrev_b32_e32 v52, 1, v52
	v_mul_u32_u24_e32 v30, 0x12c, v30
	v_mul_u32_u24_e32 v23, 0x12c, v23
	v_lshlrev_b32_e32 v51, 1, v51
	v_lshlrev_b32_e32 v63, 1, v53
	v_mul_u32_u24_e32 v48, 0x12c, v48
	v_lshlrev_b32_e32 v64, 1, v56
	v_add3_u32 v56, 0, v24, v37
	v_add3_u32 v52, 0, v25, v52
	;; [unrolled: 1-line block ×5, first 2 shown]
	global_wb scope:SCOPE_SE
	s_wait_loadcnt_dscnt 0x0
	s_barrier_signal -1
	s_barrier_wait -1
	global_inv scope:SCOPE_SE
	v_lshrrev_b32_e32 v24, 16, v20
	v_lshrrev_b32_e32 v25, 16, v21
	;; [unrolled: 1-line block ×20, first 2 shown]
	v_mul_f16_e32 v88, v92, v24
	v_mul_f16_e32 v90, v89, v25
	;; [unrolled: 1-line block ×10, first 2 shown]
	v_mul_f16_e64 v128, v58, v65
	v_mul_f16_e32 v73, v107, v66
	v_mul_f16_e64 v129, v45, v66
	v_mul_f16_e32 v71, v109, v67
	;; [unrolled: 2-line block ×6, first 2 shown]
	v_mul_f16_e32 v68, v112, v94
	v_mul_f16_e32 v70, v117, v121
	;; [unrolled: 1-line block ×10, first 2 shown]
	v_fmac_f16_e32 v88, v61, v20
	v_fmac_f16_e32 v90, v59, v21
	;; [unrolled: 1-line block ×4, first 2 shown]
	v_mul_f16_e32 v37, v54, v37
	v_mul_f16_e64 v134, v40, v93
	v_mul_f16_e64 v135, v41, v94
	v_mul_f16_e32 v121, v50, v121
	v_mul_f16_e32 v123, v42, v123
	;; [unrolled: 1-line block ×3, first 2 shown]
	v_fmac_f16_e32 v81, v54, v75
	v_fmac_f16_e32 v79, v55, v76
	;; [unrolled: 1-line block ×16, first 2 shown]
	v_mul_f16_e32 v122, v44, v122
	v_mul_f16_e32 v125, v43, v125
	v_fma_f16 v93, v86, v19, -v23
	v_fma_f16 v94, v92, v20, -v24
	;; [unrolled: 1-line block ×4, first 2 shown]
	v_add_f16_e32 v20, v88, v90
	v_add_f16_e32 v25, v87, v91
	v_fma_f16 v83, v83, v75, -v37
	v_fma_f16 v84, v84, v76, -v126
	v_fma_f16 v85, v85, v77, -v127
	v_fma_f16 v86, v115, v78, -v128
	v_fma_f16 v62, v107, v95, -v129
	v_fma_f16 v75, v109, v96, -v130
	v_fma_f16 v76, v111, v97, -v131
	v_fma_f16 v77, v116, v98, -v132
	v_fma_f16 v30, v108, v99, -v133
	v_fma_f16 v59, v110, v100, -v134
	v_fma_f16 v60, v112, v101, -v135
	v_fma_f16 v61, v117, v102, -v121
	v_fma_f16 v57, v113, v104, -v123
	v_fma_f16 v58, v120, v105, -v124
	v_add_f16_e32 v19, v36, v87
	v_sub_f16_e32 v23, v87, v88
	v_sub_f16_e32 v24, v91, v90
	;; [unrolled: 1-line block ×4, first 2 shown]
	v_add_f16_e32 v39, v32, v81
	v_add_f16_e32 v40, v79, v80
	v_sub_f16_e32 v43, v81, v79
	v_sub_f16_e32 v44, v82, v80
	v_add_f16_e32 v45, v81, v82
	v_sub_f16_e32 v46, v79, v81
	v_sub_f16_e32 v47, v80, v82
	v_add_f16_e32 v50, v71, v72
	v_add_f16_e32 v98, v73, v74
	;; [unrolled: 1-line block ×6, first 2 shown]
	v_fma_f16 v55, v114, v103, -v122
	v_fma_f16 v54, v118, v106, -v125
	v_sub_f16_e32 v21, v93, v89
	v_sub_f16_e32 v99, v71, v73
	;; [unrolled: 1-line block ×3, first 2 shown]
	v_fma_f16 v20, -0.5, v20, v36
	v_sub_f16_e32 v22, v94, v92
	v_add_f16_e32 v101, v34, v69
	v_fmac_f16_e32 v36, -0.5, v25
	v_sub_f16_e32 v41, v83, v86
	v_sub_f16_e32 v42, v84, v85
	v_add_f16_e32 v49, v33, v73
	v_sub_f16_e32 v78, v62, v77
	v_sub_f16_e32 v95, v75, v76
	;; [unrolled: 1-line block ×10, first 2 shown]
	v_add_f16_e32 v110, v35, v65
	v_sub_f16_e32 v113, v57, v58
	v_add_f16_e32 v119, v19, v88
	v_add_f16_e32 v23, v23, v24
	;; [unrolled: 1-line block ×4, first 2 shown]
	v_fma_f16 v37, -0.5, v40, v32
	v_add_f16_e32 v38, v43, v44
	v_fmac_f16_e32 v32, -0.5, v45
	v_add_f16_e32 v39, v46, v47
	v_fma_f16 v43, -0.5, v50, v33
	v_fmac_f16_e32 v33, -0.5, v98
	v_fma_f16 v47, -0.5, v102, v34
	v_fmac_f16_e32 v34, -0.5, v107
	;; [unrolled: 2-line block ×3, first 2 shown]
	v_sub_f16_e32 v112, v55, v54
	v_add_f16_e32 v45, v99, v100
	v_fmamk_f16 v100, v21, 0xbb9c, v20
	v_add_f16_e32 v46, v101, v67
	v_fmamk_f16 v101, v22, 0x3b9c, v36
	v_fmac_f16_e32 v36, 0xbb9c, v22
	v_sub_f16_e32 v117, v63, v65
	v_sub_f16_e32 v118, v64, v66
	v_add_f16_e32 v40, v49, v71
	v_add_f16_e32 v44, v96, v97
	;; [unrolled: 1-line block ×5, first 2 shown]
	v_fmac_f16_e32 v20, 0x3b9c, v21
	v_fmamk_f16 v102, v41, 0xbb9c, v37
	v_fmac_f16_e32 v37, 0x3b9c, v41
	v_fmamk_f16 v105, v42, 0x3b9c, v32
	;; [unrolled: 2-line block ×7, first 2 shown]
	v_fmac_f16_e32 v35, 0xbb9c, v113
	v_sub_f16_e32 v114, v65, v63
	v_sub_f16_e32 v115, v66, v64
	v_add_f16_e32 v99, v119, v90
	v_fmamk_f16 v110, v112, 0xbb9c, v19
	v_fmac_f16_e32 v19, 0x3b9c, v112
	v_fmac_f16_e32 v100, 0xb8b4, v22
	v_fmac_f16_e32 v101, 0xb8b4, v21
	v_fmac_f16_e32 v36, 0x38b4, v21
	v_add_f16_e32 v98, v117, v118
	v_add_f16_e32 v25, v25, v80
	;; [unrolled: 1-line block ×5, first 2 shown]
	v_fmac_f16_e32 v20, 0x38b4, v22
	v_fmac_f16_e32 v37, 0x38b4, v42
	;; [unrolled: 1-line block ×8, first 2 shown]
	v_add_f16_e32 v97, v114, v115
	v_add_f16_e32 v99, v99, v91
	v_fmac_f16_e32 v102, 0xb8b4, v42
	v_fmac_f16_e32 v105, 0xb8b4, v41
	;; [unrolled: 1-line block ×12, first 2 shown]
	v_add_f16_e32 v21, v25, v82
	v_add_f16_e32 v22, v40, v74
	;; [unrolled: 1-line block ×4, first 2 shown]
	v_fmac_f16_e32 v20, 0x34f2, v23
	v_fmac_f16_e32 v37, 0x34f2, v38
	;; [unrolled: 1-line block ×17, first 2 shown]
	ds_store_b16 v56, v99
	ds_store_b16 v56, v100 offset:60
	ds_store_b16 v56, v101 offset:120
	ds_store_b16 v56, v36 offset:180
	ds_store_b16 v56, v20 offset:240
	ds_store_b16 v53, v21
	ds_store_b16 v53, v102 offset:60
	ds_store_b16 v53, v105 offset:120
	ds_store_b16 v53, v32 offset:180
	ds_store_b16 v53, v37 offset:240
	;; [unrolled: 5-line block ×5, first 2 shown]
	global_wb scope:SCOPE_SE
	s_wait_dscnt 0x0
	s_barrier_signal -1
	s_barrier_wait -1
	global_inv scope:SCOPE_SE
	ds_load_u16 v33, v0
	ds_load_u16 v25, v0 offset:360
	ds_load_u16 v20, v0 offset:540
	;; [unrolled: 1-line block ×21, first 2 shown]
	ds_load_u16 v32, v5
	ds_load_u16 v39, v0 offset:4260
	v_lshl_add_u32 v78, v7, 1, 0
	s_and_saveexec_b32 s1, s0
	s_cbranch_execz .LBB0_29
; %bb.28:
	ds_load_u16 v16, v0 offset:2940
	ds_load_u16 v19, v78 offset:1440
	;; [unrolled: 1-line block ×3, first 2 shown]
.LBB0_29:
	s_wait_alu 0xfffe
	s_or_b32 exec_lo, exec_lo, s1
	v_add_f16_e32 v96, v31, v93
	v_add_f16_e32 v95, v94, v92
	v_sub_f16_e32 v88, v88, v90
	v_sub_f16_e32 v90, v93, v94
	v_add_f16_e32 v97, v93, v89
	v_sub_f16_e32 v93, v94, v93
	v_add_f16_e32 v94, v96, v94
	v_sub_f16_e32 v87, v87, v91
	v_fma_f16 v91, -0.5, v95, v31
	v_sub_f16_e32 v95, v89, v92
	v_sub_f16_e32 v98, v92, v89
	v_add_f16_e32 v92, v94, v92
	v_fmac_f16_e32 v31, -0.5, v97
	v_fmamk_f16 v96, v87, 0x3b9c, v91
	v_add_f16_e32 v90, v90, v95
	v_fmac_f16_e32 v91, 0xbb9c, v87
	v_add_f16_e32 v95, v84, v85
	v_add_f16_e32 v89, v92, v89
	;; [unrolled: 1-line block ×4, first 2 shown]
	v_fmac_f16_e32 v96, 0x38b4, v88
	v_fmac_f16_e32 v91, 0xb8b4, v88
	v_fma_f16 v95, -0.5, v95, v29
	v_sub_f16_e32 v81, v81, v82
	v_add_f16_e32 v82, v93, v84
	v_fmamk_f16 v94, v88, 0xbb9c, v31
	v_fmac_f16_e32 v96, 0x34f2, v90
	v_fmac_f16_e32 v91, 0x34f2, v90
	;; [unrolled: 1-line block ×3, first 2 shown]
	v_fmamk_f16 v88, v81, 0x3b9c, v95
	v_sub_f16_e32 v79, v79, v80
	v_sub_f16_e32 v80, v83, v84
	;; [unrolled: 1-line block ×3, first 2 shown]
	v_add_f16_e32 v93, v83, v86
	v_add_f16_e32 v82, v82, v85
	v_fmac_f16_e32 v95, 0xbb9c, v81
	v_fmac_f16_e32 v88, 0x38b4, v79
	v_add_f16_e32 v80, v80, v90
	v_fmac_f16_e32 v29, -0.5, v93
	v_add_f16_e32 v82, v82, v86
	v_sub_f16_e32 v83, v84, v83
	v_sub_f16_e32 v84, v85, v86
	v_fmac_f16_e32 v95, 0xb8b4, v79
	v_add_f16_e32 v85, v27, v62
	v_add_f16_e32 v86, v75, v76
	v_fmac_f16_e32 v94, 0x38b4, v87
	v_fmac_f16_e32 v31, 0xb8b4, v87
	;; [unrolled: 1-line block ×3, first 2 shown]
	v_fmamk_f16 v87, v79, 0xbb9c, v29
	v_add_f16_e32 v83, v83, v84
	v_fmac_f16_e32 v29, 0x3b9c, v79
	v_add_f16_e32 v79, v85, v75
	v_fma_f16 v84, -0.5, v86, v27
	v_sub_f16_e32 v73, v73, v74
	v_fmac_f16_e32 v95, 0x34f2, v80
	v_add_f16_e32 v80, v62, v77
	v_fmac_f16_e32 v87, 0x38b4, v81
	v_fmac_f16_e32 v29, 0xb8b4, v81
	v_add_f16_e32 v74, v79, v76
	v_fmamk_f16 v79, v73, 0x3b9c, v84
	v_sub_f16_e32 v71, v71, v72
	v_sub_f16_e32 v72, v62, v75
	v_sub_f16_e32 v81, v77, v76
	v_fmac_f16_e32 v27, -0.5, v80
	v_fmac_f16_e32 v84, 0xbb9c, v73
	v_sub_f16_e32 v62, v75, v62
	v_sub_f16_e32 v75, v76, v77
	v_add_f16_e32 v76, v59, v60
	v_fmac_f16_e32 v79, 0x38b4, v71
	v_add_f16_e32 v72, v72, v81
	v_fmamk_f16 v80, v71, 0xbb9c, v27
	v_fmac_f16_e32 v84, 0xb8b4, v71
	v_add_f16_e32 v62, v62, v75
	v_fmac_f16_e32 v27, 0x3b9c, v71
	v_add_f16_e32 v71, v26, v30
	v_fma_f16 v75, -0.5, v76, v26
	v_sub_f16_e32 v69, v69, v70
	v_fmac_f16_e32 v79, 0x34f2, v72
	v_fmac_f16_e32 v80, 0x38b4, v73
	v_fmac_f16_e32 v84, 0x34f2, v72
	v_fmac_f16_e32 v27, 0xb8b4, v73
	v_add_f16_e32 v70, v71, v59
	v_fmamk_f16 v71, v69, 0x3b9c, v75
	v_sub_f16_e32 v67, v67, v68
	v_sub_f16_e32 v68, v30, v59
	;; [unrolled: 1-line block ×3, first 2 shown]
	v_fmac_f16_e32 v75, 0xbb9c, v69
	v_add_f16_e32 v73, v30, v61
	v_add_f16_e32 v70, v70, v60
	v_fmac_f16_e32 v71, 0x38b4, v67
	v_add_f16_e32 v68, v68, v72
	v_fmac_f16_e32 v75, 0xb8b4, v67
	v_fmac_f16_e32 v26, -0.5, v73
	v_fmac_f16_e32 v80, 0x34f2, v62
	v_fmac_f16_e32 v27, 0x34f2, v62
	v_add_f16_e32 v62, v70, v61
	v_fmac_f16_e32 v71, 0x34f2, v68
	v_fmac_f16_e32 v75, 0x34f2, v68
	v_fmamk_f16 v68, v67, 0xbb9c, v26
	v_add_f16_e32 v70, v57, v58
	v_sub_f16_e32 v59, v59, v30
	v_sub_f16_e32 v60, v60, v61
	v_fmac_f16_e32 v26, 0x3b9c, v67
	v_add_f16_e32 v61, v28, v55
	v_sub_f16_e32 v65, v65, v66
	v_add_f16_e32 v66, v55, v54
	v_fma_f16 v30, -0.5, v70, v28
	v_fmac_f16_e32 v68, 0x38b4, v69
	v_add_f16_e32 v59, v59, v60
	v_fmac_f16_e32 v26, 0xb8b4, v69
	v_add_f16_e32 v60, v61, v57
	v_sub_f16_e32 v63, v63, v64
	v_fmac_f16_e32 v28, -0.5, v66
	v_fmamk_f16 v61, v65, 0x3b9c, v30
	v_fmac_f16_e32 v68, 0x34f2, v59
	v_fmac_f16_e32 v26, 0x34f2, v59
	v_add_f16_e32 v59, v60, v58
	v_sub_f16_e32 v60, v55, v57
	v_sub_f16_e32 v64, v54, v58
	v_fmamk_f16 v66, v63, 0xbb9c, v28
	v_sub_f16_e32 v55, v57, v55
	v_sub_f16_e32 v57, v58, v54
	v_fmac_f16_e32 v28, 0x3b9c, v63
	v_fmac_f16_e32 v30, 0xbb9c, v65
	;; [unrolled: 1-line block ×3, first 2 shown]
	v_add_f16_e32 v58, v60, v64
	v_fmac_f16_e32 v66, 0x38b4, v65
	v_add_f16_e32 v55, v55, v57
	v_fmac_f16_e32 v28, 0xb8b4, v65
	v_fmac_f16_e32 v30, 0xb8b4, v63
	;; [unrolled: 1-line block ×5, first 2 shown]
	v_add_f16_e32 v54, v59, v54
	v_fmac_f16_e32 v61, 0x34f2, v58
	v_fmac_f16_e32 v66, 0x34f2, v55
	;; [unrolled: 1-line block ×4, first 2 shown]
	v_add_f16_e32 v74, v74, v77
	v_fmac_f16_e32 v30, 0x34f2, v58
	global_wb scope:SCOPE_SE
	s_wait_dscnt 0x0
	s_barrier_signal -1
	s_barrier_wait -1
	global_inv scope:SCOPE_SE
	ds_store_b16 v56, v89
	ds_store_b16 v56, v96 offset:60
	ds_store_b16 v56, v94 offset:120
	ds_store_b16 v56, v31 offset:180
	ds_store_b16 v56, v91 offset:240
	ds_store_b16 v53, v82
	ds_store_b16 v53, v88 offset:60
	ds_store_b16 v53, v87 offset:120
	ds_store_b16 v53, v29 offset:180
	ds_store_b16 v53, v95 offset:240
	;; [unrolled: 5-line block ×5, first 2 shown]
	global_wb scope:SCOPE_SE
	s_wait_dscnt 0x0
	s_barrier_signal -1
	s_barrier_wait -1
	global_inv scope:SCOPE_SE
	ds_load_u16 v26, v0
	ds_load_u16 v27, v0 offset:360
	ds_load_u16 v28, v0 offset:540
	;; [unrolled: 1-line block ×21, first 2 shown]
	ds_load_u16 v52, v5
	ds_load_u16 v58, v0 offset:4260
	s_and_saveexec_b32 s1, s0
	s_cbranch_execz .LBB0_31
; %bb.30:
	ds_load_u16 v18, v0 offset:2940
	ds_load_u16 v30, v78 offset:1440
	;; [unrolled: 1-line block ×3, first 2 shown]
.LBB0_31:
	s_wait_alu 0xfffe
	s_or_b32 exec_lo, exec_lo, s1
	v_lshrrev_b16 v71, 1, v9
	v_dual_mov_b32 v70, 0 :: v_dual_lshlrev_b32 v69, 1, v7
	v_subrev_nc_u32_e32 v73, 60, v7
	v_cmp_gt_u32_e64 s1, 60, v7
	s_delay_alu instid0(VALU_DEP_4)
	v_and_b32_e32 v74, 0xffff, v71
	v_lshrrev_b16 v79, 1, v10
	v_lshlrev_b64_e32 v[71:72], 2, v[69:70]
	v_lshrrev_b16 v84, 1, v11
	s_wait_alu 0xf1ff
	v_cndmask_b32_e64 v73, v73, v8, s1
	v_mul_u32_u24_e32 v77, 0xda75, v74
	v_dual_mov_b32 v74, v70 :: v_dual_add_nc_u32 v75, 60, v69
	s_delay_alu instid0(VALU_DEP_3) | instskip(NEXT) | instid1(VALU_DEP_3)
	v_dual_mov_b32 v76, v70 :: v_dual_lshlrev_b32 v73, 1, v73
	v_lshrrev_b32_e32 v99, 22, v77
	v_add_co_u32 v70, s1, s8, v71
	s_wait_alu 0xf1ff
	v_add_co_ci_u32_e64 v71, s1, s9, v72, s1
	s_delay_alu instid0(VALU_DEP_3)
	v_mul_lo_u16 v72, 0x96, v99
	v_lshlrev_b64_e32 v[77:78], 2, v[73:74]
	v_lshlrev_b64_e32 v[74:75], 2, v[75:76]
	global_load_b64 v[80:81], v[70:71], off offset:560
	v_lshrrev_b16 v89, 1, v12
	v_sub_nc_u16 v72, v9, v72
	v_add_co_u32 v70, s1, s8, v77
	s_wait_alu 0xf1ff
	v_add_co_ci_u32_e64 v71, s1, s9, v78, s1
	s_delay_alu instid0(VALU_DEP_3) | instskip(SKIP_3) | instid1(VALU_DEP_3)
	v_and_b32_e32 v72, 0xffff, v72
	v_add_co_u32 v74, s1, s8, v74
	s_wait_alu 0xf1ff
	v_add_co_ci_u32_e64 v75, s1, s9, v75, s1
	v_lshlrev_b32_e32 v76, 3, v72
	v_lshrrev_b16 v77, 1, v13
	v_and_b32_e32 v78, 0xffff, v79
	s_clause 0x2
	global_load_b64 v[82:83], v[70:71], off offset:560
	global_load_b64 v[85:86], v[74:75], off offset:560
	global_load_b64 v[87:88], v76, s[8:9] offset:560
	v_and_b32_e32 v70, 0xffff, v84
	v_lshrrev_b16 v71, 1, v14
	v_and_b32_e32 v74, 0xffff, v89
	v_mul_u32_u24_e32 v75, 0xda75, v78
	v_and_b32_e32 v76, 0xffff, v77
	v_mul_u32_u24_e32 v70, 0xda75, v70
	;; [unrolled: 2-line block ×3, first 2 shown]
	v_lshrrev_b32_e32 v75, 22, v75
	v_mul_u32_u24_e32 v76, 0xda75, v76
	v_lshrrev_b32_e32 v70, 22, v70
	v_mul_u32_u24_e32 v71, 0xda75, v71
	v_lshrrev_b32_e32 v74, 22, v74
	v_mul_lo_u16 v75, 0x96, v75
	v_lshrrev_b32_e32 v76, 22, v76
	v_mul_lo_u16 v70, 0x96, v70
	;; [unrolled: 2-line block ×3, first 2 shown]
	v_sub_nc_u16 v75, v10, v75
	v_mul_lo_u16 v76, 0x96, v76
	v_sub_nc_u16 v11, v11, v70
	v_mul_lo_u16 v70, 0x96, v71
	v_sub_nc_u16 v12, v12, v77
	v_and_b32_e32 v75, 0xffff, v75
	v_sub_nc_u16 v13, v13, v76
	v_and_b32_e32 v11, 0xffff, v11
	;; [unrolled: 2-line block ×3, first 2 shown]
	v_lshlrev_b32_e32 v70, 3, v75
	v_and_b32_e32 v13, 0xffff, v13
	v_lshlrev_b32_e32 v71, 3, v11
	v_and_b32_e32 v14, 0xffff, v14
	v_lshlrev_b32_e32 v76, 3, v12
	global_load_b64 v[89:90], v70, s[8:9] offset:560
	v_cmp_lt_u32_e64 s1, 59, v7
	global_load_b64 v[91:92], v71, s[8:9] offset:560
	v_lshlrev_b32_e32 v70, 3, v13
	v_lshlrev_b32_e32 v71, 3, v14
	s_clause 0x2
	global_load_b64 v[93:94], v76, s[8:9] offset:560
	global_load_b64 v[95:96], v70, s[8:9] offset:560
	;; [unrolled: 1-line block ×3, first 2 shown]
	s_wait_alu 0xf1ff
	v_cndmask_b32_e64 v71, 0, 0x384, s1
	v_mul_u32_u24_e32 v76, 0x384, v99
	v_mul_u32_u24_e32 v79, 0x384, v74
	v_lshlrev_b32_e32 v77, 1, v72
	v_lshlrev_b32_e32 v12, 1, v12
	v_add3_u32 v71, 0, v71, v73
	v_lshl_add_u32 v73, v11, 1, 0
	v_lshl_add_u32 v72, v13, 1, 0
	;; [unrolled: 1-line block ×3, first 2 shown]
	v_add3_u32 v76, 0, v76, v77
	v_add3_u32 v75, 0, v79, v12
	v_add_nc_u32_e32 v70, 0, v69
	v_lshl_add_u32 v69, v14, 1, 0
	global_wb scope:SCOPE_SE
	s_wait_loadcnt_dscnt 0x0
	s_barrier_signal -1
	s_barrier_wait -1
	global_inv scope:SCOPE_SE
	v_lshrrev_b32_e32 v11, 16, v80
	v_lshrrev_b32_e32 v13, 16, v81
	s_delay_alu instid0(VALU_DEP_2) | instskip(SKIP_1) | instid1(VALU_DEP_3)
	v_mul_f16_e32 v77, v68, v11
	v_mul_f16_e32 v11, v49, v11
	;; [unrolled: 1-line block ×4, first 2 shown]
	s_delay_alu instid0(VALU_DEP_4) | instskip(NEXT) | instid1(VALU_DEP_4)
	v_fmac_f16_e32 v77, v49, v80
	v_fma_f16 v80, v68, v80, -v11
	s_delay_alu instid0(VALU_DEP_4) | instskip(NEXT) | instid1(VALU_DEP_4)
	v_fma_f16 v67, v67, v81, -v12
	v_fmac_f16_e32 v78, v50, v81
	v_lshrrev_b32_e32 v11, 16, v82
	v_lshrrev_b32_e32 v12, 16, v83
	;; [unrolled: 1-line block ×4, first 2 shown]
	v_add_f16_e32 v99, v33, v77
	v_mul_f16_e32 v68, v64, v11
	v_mul_f16_e32 v11, v45, v11
	v_mul_f16_e32 v79, v66, v12
	v_mul_f16_e32 v12, v47, v12
	v_mul_f16_e32 v49, v63, v13
	v_mul_f16_e32 v13, v44, v13
	v_mul_f16_e32 v50, v65, v14
	v_mul_f16_e32 v14, v46, v14
	v_add_f16_e32 v100, v77, v78
	v_fma_f16 v84, v64, v82, -v11
	v_fma_f16 v81, v66, v83, -v12
	v_lshrrev_b32_e32 v11, 16, v87
	v_lshrrev_b32_e32 v12, 16, v88
	v_fmac_f16_e32 v79, v47, v83
	v_fma_f16 v66, v63, v85, -v13
	v_fma_f16 v47, v65, v86, -v14
	v_fmac_f16_e32 v68, v45, v82
	v_fmac_f16_e32 v49, v44, v85
	;; [unrolled: 1-line block ×3, first 2 shown]
	v_add_f16_e32 v85, v99, v78
	v_fmac_f16_e32 v33, -0.5, v100
	v_mul_f16_e32 v82, v60, v11
	v_mul_f16_e32 v83, v62, v12
	v_sub_f16_e32 v101, v80, v67
	v_mul_f16_e32 v111, v41, v11
	v_mul_f16_e32 v112, v43, v12
	v_add_f16_e32 v106, v68, v79
	v_fmac_f16_e32 v82, v41, v87
	v_fmac_f16_e32 v83, v43, v88
	v_fmamk_f16 v105, v101, 0xbaee, v33
	v_fmac_f16_e32 v33, 0x3aee, v101
	v_lshrrev_b32_e32 v13, 16, v89
	v_lshrrev_b32_e32 v14, 16, v90
	v_lshrrev_b32_e32 v44, 16, v91
	v_lshrrev_b32_e32 v45, 16, v92
	v_add_f16_e32 v109, v49, v50
	v_lshrrev_b32_e32 v86, 16, v93
	v_lshrrev_b32_e32 v99, 16, v94
	;; [unrolled: 1-line block ×5, first 2 shown]
	v_mul_f16_e32 v63, v56, v13
	v_mul_f16_e32 v65, v61, v14
	v_lshrrev_b32_e32 v104, 16, v98
	v_mul_f16_e32 v113, v37, v13
	v_mul_f16_e32 v114, v42, v14
	;; [unrolled: 1-line block ×11, first 2 shown]
	v_fmac_f16_e32 v63, v37, v89
	v_fmac_f16_e32 v65, v42, v90
	v_add_f16_e32 v101, v32, v68
	v_mul_f16_e32 v116, v40, v45
	v_mul_f16_e32 v86, v34, v86
	;; [unrolled: 1-line block ×7, first 2 shown]
	v_fmac_f16_e32 v46, v35, v91
	v_fmac_f16_e32 v64, v40, v92
	;; [unrolled: 1-line block ×6, first 2 shown]
	v_sub_f16_e32 v107, v84, v81
	v_fmac_f16_e32 v32, -0.5, v106
	ds_store_b16 v0, v85
	ds_store_b16 v0, v105 offset:300
	ds_store_b16 v0, v33 offset:600
	v_fma_f16 v85, v60, v87, -v111
	v_fma_f16 v60, v62, v88, -v112
	;; [unrolled: 1-line block ×3, first 2 shown]
	v_add_f16_e32 v18, v82, v83
	v_add_f16_e32 v108, v25, v49
	v_sub_f16_e32 v110, v66, v47
	v_fmac_f16_e32 v25, -0.5, v109
	v_fma_f16 v56, v56, v89, -v113
	v_fma_f16 v41, v61, v90, -v114
	v_add_f16_e32 v40, v63, v65
	v_add_f16_e32 v101, v101, v79
	v_fma_f16 v54, v54, v91, -v115
	v_fma_f16 v37, v59, v92, -v116
	;; [unrolled: 1-line block ×7, first 2 shown]
	v_add_f16_e32 v17, v20, v82
	v_add_f16_e32 v57, v46, v64
	;; [unrolled: 1-line block ×4, first 2 shown]
	v_fmac_f16_e32 v45, v15, v98
	v_fmamk_f16 v15, v107, 0xbaee, v32
	v_sub_f16_e32 v38, v85, v60
	v_fmac_f16_e32 v20, -0.5, v18
	v_fmac_f16_e32 v32, 0x3aee, v107
	v_add_f16_e32 v106, v108, v50
	v_add_f16_e32 v39, v21, v63
	v_fmac_f16_e32 v44, v16, v97
	v_fmamk_f16 v16, v110, 0xbaee, v25
	v_sub_f16_e32 v53, v56, v41
	v_fmac_f16_e32 v21, -0.5, v40
	v_fmac_f16_e32 v25, 0x3aee, v110
	v_add_f16_e32 v55, v22, v46
	v_sub_f16_e32 v58, v54, v37
	v_add_f16_e32 v59, v23, v11
	v_sub_f16_e32 v62, v35, v33
	;; [unrolled: 2-line block ×3, first 2 shown]
	ds_store_b16 v71, v101
	ds_store_b16 v71, v15 offset:300
	ds_store_b16 v71, v32 offset:600
	;; [unrolled: 1-line block ×5, first 2 shown]
	v_add_f16_e32 v15, v17, v83
	v_fmac_f16_e32 v22, -0.5, v57
	v_fmac_f16_e32 v23, -0.5, v61
	v_fmac_f16_e32 v24, -0.5, v87
	v_fmamk_f16 v32, v38, 0xbaee, v20
	v_fmac_f16_e32 v20, 0x3aee, v38
	v_add_f16_e32 v16, v39, v65
	v_fmamk_f16 v38, v53, 0xbaee, v21
	v_add_f16_e32 v17, v55, v64
	v_add_f16_e32 v18, v59, v13
	;; [unrolled: 1-line block ×3, first 2 shown]
	v_fmac_f16_e32 v21, 0x3aee, v53
	v_fmamk_f16 v39, v58, 0xbaee, v22
	v_fmac_f16_e32 v22, 0x3aee, v58
	v_fmamk_f16 v40, v62, 0xbaee, v23
	;; [unrolled: 2-line block ×3, first 2 shown]
	v_fmac_f16_e32 v24, 0x3aee, v88
	ds_store_b16 v76, v15
	ds_store_b16 v76, v32 offset:300
	ds_store_b16 v76, v20 offset:600
	;; [unrolled: 1-line block ×8, first 2 shown]
	ds_store_b16 v75, v18
	ds_store_b16 v75, v40 offset:300
	ds_store_b16 v75, v23 offset:600
	;; [unrolled: 1-line block ×5, first 2 shown]
	s_and_saveexec_b32 s1, s0
	s_cbranch_execz .LBB0_33
; %bb.32:
	v_add_f16_e32 v15, v44, v45
	v_add_f16_e32 v17, v19, v44
	v_sub_f16_e32 v16, v43, v42
	s_delay_alu instid0(VALU_DEP_3) | instskip(NEXT) | instid1(VALU_DEP_3)
	v_fma_f16 v15, -0.5, v15, v19
	v_add_f16_e32 v17, v17, v45
	s_delay_alu instid0(VALU_DEP_2)
	v_fmamk_f16 v18, v16, 0x3aee, v15
	v_fmac_f16_e32 v15, 0xbaee, v16
	ds_store_b16 v69, v17 offset:3600
	ds_store_b16 v69, v15 offset:3900
	;; [unrolled: 1-line block ×3, first 2 shown]
.LBB0_33:
	s_wait_alu 0xfffe
	s_or_b32 exec_lo, exec_lo, s1
	v_add_f16_e32 v15, v80, v67
	v_add_f16_e32 v16, v26, v80
	v_sub_f16_e32 v17, v77, v78
	v_add_f16_e32 v18, v84, v81
	v_sub_f16_e32 v19, v68, v79
	v_fmac_f16_e32 v26, -0.5, v15
	v_add_f16_e32 v15, v52, v84
	v_add_f16_e32 v53, v16, v67
	;; [unrolled: 1-line block ×3, first 2 shown]
	v_fmac_f16_e32 v52, -0.5, v18
	v_fmamk_f16 v55, v17, 0x3aee, v26
	v_add_f16_e32 v57, v15, v81
	v_add_f16_e32 v15, v66, v47
	v_fmac_f16_e32 v26, 0xbaee, v17
	v_add_f16_e32 v17, v85, v60
	v_add_f16_e32 v47, v16, v47
	;; [unrolled: 1-line block ×3, first 2 shown]
	v_fmac_f16_e32 v27, -0.5, v15
	v_sub_f16_e32 v15, v49, v50
	v_fmac_f16_e32 v28, -0.5, v17
	v_sub_f16_e32 v17, v82, v83
	v_add_f16_e32 v50, v16, v60
	v_add_f16_e32 v16, v29, v56
	v_fmamk_f16 v49, v15, 0x3aee, v27
	v_fmac_f16_e32 v27, 0xbaee, v15
	v_add_f16_e32 v15, v56, v41
	v_fmamk_f16 v59, v17, 0x3aee, v28
	v_fmac_f16_e32 v28, 0xbaee, v17
	v_add_f16_e32 v17, v54, v37
	v_add_f16_e32 v56, v16, v41
	v_fmac_f16_e32 v29, -0.5, v15
	v_sub_f16_e32 v15, v63, v65
	v_add_f16_e32 v16, v31, v54
	v_fmac_f16_e32 v31, -0.5, v17
	v_sub_f16_e32 v17, v46, v64
	v_sub_f16_e32 v11, v11, v13
	v_fmamk_f16 v46, v15, 0x3aee, v29
	v_fmac_f16_e32 v29, 0xbaee, v15
	v_add_f16_e32 v54, v16, v37
	v_add_f16_e32 v15, v35, v33
	;; [unrolled: 1-line block ×3, first 2 shown]
	v_fmamk_f16 v60, v17, 0x3aee, v31
	v_fmac_f16_e32 v31, 0xbaee, v17
	v_add_f16_e32 v17, v48, v35
	v_fmac_f16_e32 v48, -0.5, v15
	v_add_f16_e32 v13, v51, v36
	v_fmac_f16_e32 v51, -0.5, v16
	v_sub_f16_e32 v12, v12, v14
	v_fmamk_f16 v58, v19, 0x3aee, v52
	v_fmac_f16_e32 v52, 0xbaee, v19
	v_add_f16_e32 v61, v17, v33
	v_fmamk_f16 v62, v11, 0x3aee, v48
	v_fmac_f16_e32 v48, 0xbaee, v11
	v_add_f16_e32 v63, v13, v34
	v_fmamk_f16 v64, v12, 0x3aee, v51
	v_fmac_f16_e32 v51, 0xbaee, v12
	global_wb scope:SCOPE_SE
	s_wait_dscnt 0x0
	s_barrier_signal -1
	s_barrier_wait -1
	global_inv scope:SCOPE_SE
	ds_load_u16 v13, v5
	ds_load_u16 v20, v0 offset:2880
	ds_load_u16 v11, v0
	ds_load_u16 v19, v0 offset:360
	ds_load_u16 v25, v0 offset:540
	ds_load_u16 v21, v0 offset:1080
	ds_load_u16 v14, v0 offset:1260
	ds_load_u16 v34, v0 offset:1440
	ds_load_u16 v22, v0 offset:1980
	ds_load_u16 v15, v0 offset:2160
	ds_load_u16 v35, v0 offset:2340
	ds_load_u16 v24, v0 offset:3060
	ds_load_u16 v36, v0 offset:3240
	ds_load_u16 v16, v0 offset:900
	ds_load_u16 v33, v0 offset:720
	ds_load_u16 v17, v0 offset:2700
	ds_load_u16 v39, v0 offset:2520
	ds_load_u16 v18, v0 offset:1800
	ds_load_u16 v38, v0 offset:1620
	ds_load_u16 v23, v0 offset:3780
	ds_load_u16 v32, v0 offset:3960
	ds_load_u16 v37, v0 offset:4140
	ds_load_u16 v40, v0 offset:4320
	ds_load_u16 v12, v0 offset:3600
	ds_load_u16 v41, v0 offset:3420
	global_wb scope:SCOPE_SE
	s_wait_dscnt 0x0
	s_barrier_signal -1
	s_barrier_wait -1
	global_inv scope:SCOPE_SE
	ds_store_b16 v0, v53
	ds_store_b16 v0, v55 offset:300
	ds_store_b16 v0, v26 offset:600
	ds_store_b16 v71, v57
	ds_store_b16 v71, v58 offset:300
	ds_store_b16 v71, v52 offset:600
	;; [unrolled: 1-line block ×5, first 2 shown]
	ds_store_b16 v76, v50
	ds_store_b16 v76, v59 offset:300
	ds_store_b16 v76, v28 offset:600
	;; [unrolled: 1-line block ×8, first 2 shown]
	ds_store_b16 v75, v61
	ds_store_b16 v75, v62 offset:300
	ds_store_b16 v75, v48 offset:600
	;; [unrolled: 1-line block ×5, first 2 shown]
	s_and_saveexec_b32 s1, s0
	s_cbranch_execz .LBB0_35
; %bb.34:
	v_add_f16_e32 v26, v43, v42
	v_add_f16_e32 v27, v30, v43
	v_sub_f16_e32 v28, v44, v45
	s_delay_alu instid0(VALU_DEP_3) | instskip(NEXT) | instid1(VALU_DEP_3)
	v_fmac_f16_e32 v30, -0.5, v26
	v_add_f16_e32 v26, v27, v42
	s_delay_alu instid0(VALU_DEP_2)
	v_fmamk_f16 v27, v28, 0x3aee, v30
	v_fmac_f16_e32 v30, 0xbaee, v28
	ds_store_b16 v69, v26 offset:3600
	ds_store_b16 v69, v27 offset:3900
	;; [unrolled: 1-line block ×3, first 2 shown]
.LBB0_35:
	s_wait_alu 0xfffe
	s_or_b32 exec_lo, exec_lo, s1
	global_wb scope:SCOPE_SE
	s_wait_dscnt 0x0
	s_barrier_signal -1
	s_barrier_wait -1
	global_inv scope:SCOPE_SE
	s_and_saveexec_b32 s0, vcc_lo
	s_cbranch_execz .LBB0_37
; %bb.36:
	v_dual_mov_b32 v31, 0 :: v_dual_lshlrev_b32 v30, 2, v10
	v_lshlrev_b64_e32 v[1:2], 2, v[1:2]
	s_delay_alu instid0(VALU_DEP_2) | instskip(SKIP_1) | instid1(VALU_DEP_1)
	v_lshlrev_b64_e32 v[26:27], 2, v[30:31]
	v_lshlrev_b32_e32 v30, 2, v9
	v_lshlrev_b64_e32 v[42:43], 2, v[30:31]
	s_delay_alu instid0(VALU_DEP_3) | instskip(SKIP_1) | instid1(VALU_DEP_4)
	v_add_co_u32 v9, vcc_lo, s8, v26
	s_wait_alu 0xfffd
	v_add_co_ci_u32_e32 v10, vcc_lo, s9, v27, vcc_lo
	v_lshlrev_b32_e32 v30, 2, v6
	v_mul_lo_u32 v6, s3, v3
	global_load_b128 v[26:29], v[9:10], off offset:1760
	v_add_co_u32 v9, vcc_lo, s8, v42
	s_wait_alu 0xfffd
	v_add_co_ci_u32_e32 v10, vcc_lo, s9, v43, vcc_lo
	global_load_b128 v[42:45], v[9:10], off offset:1760
	v_lshlrev_b64_e32 v[9:10], 2, v[30:31]
	v_lshlrev_b32_e32 v30, 2, v8
	s_delay_alu instid0(VALU_DEP_2) | instskip(SKIP_1) | instid1(VALU_DEP_3)
	v_add_co_u32 v9, vcc_lo, s8, v9
	s_wait_alu 0xfffd
	v_add_co_ci_u32_e32 v10, vcc_lo, s9, v10, vcc_lo
	global_load_b128 v[46:49], v[9:10], off offset:1760
	v_lshlrev_b64_e32 v[8:9], 2, v[30:31]
	v_lshlrev_b32_e32 v30, 2, v7
	s_delay_alu instid0(VALU_DEP_2) | instskip(SKIP_1) | instid1(VALU_DEP_3)
	v_add_co_u32 v8, vcc_lo, s8, v8
	s_wait_alu 0xfffd
	v_add_co_ci_u32_e32 v9, vcc_lo, s9, v9, vcc_lo
	global_load_b128 v[50:53], v[8:9], off offset:1760
	v_lshlrev_b64_e32 v[8:9], 2, v[30:31]
	s_delay_alu instid0(VALU_DEP_1) | instskip(SKIP_1) | instid1(VALU_DEP_2)
	v_add_co_u32 v8, vcc_lo, s8, v8
	s_wait_alu 0xfffd
	v_add_co_ci_u32_e32 v9, vcc_lo, s9, v9, vcc_lo
	global_load_b128 v[54:57], v[8:9], off offset:1760
	v_mul_lo_u32 v8, s2, v4
	v_mad_co_u64_u32 v[3:4], null, s2, v3, 0
	ds_load_u16 v9, v0 offset:1620
	ds_load_u16 v10, v0 offset:4320
	;; [unrolled: 1-line block ×9, first 2 shown]
	ds_load_u16 v63, v5
	ds_load_u16 v64, v0 offset:2880
	ds_load_u16 v65, v0 offset:2700
	;; [unrolled: 1-line block ×14, first 2 shown]
	ds_load_u16 v77, v0
	v_add3_u32 v4, v4, v8, v6
	s_delay_alu instid0(VALU_DEP_1)
	v_lshlrev_b64_e32 v[3:4], 2, v[3:4]
	s_wait_loadcnt 0x4
	v_lshrrev_b32_e32 v0, 16, v27
	v_lshrrev_b32_e32 v78, 16, v26
	;; [unrolled: 1-line block ×4, first 2 shown]
	s_delay_alu instid0(VALU_DEP_4) | instskip(NEXT) | instid1(VALU_DEP_4)
	v_mul_f16_e32 v6, v39, v0
	v_mul_f16_e32 v8, v38, v78
	s_delay_alu instid0(VALU_DEP_4) | instskip(NEXT) | instid1(VALU_DEP_4)
	v_mul_f16_e32 v81, v41, v79
	v_mul_f16_e32 v82, v40, v80
	s_wait_dscnt 0xc
	v_mul_f16_e32 v83, v5, v0
	v_mul_f16_e32 v79, v60, v79
	;; [unrolled: 1-line block ×4, first 2 shown]
	s_wait_loadcnt 0x3
	v_lshrrev_b32_e32 v80, 16, v42
	v_lshrrev_b32_e32 v84, 16, v43
	;; [unrolled: 1-line block ×4, first 2 shown]
	v_fma_f16 v5, v27, v5, -v6
	v_fma_f16 v6, v26, v9, -v8
	;; [unrolled: 1-line block ×4, first 2 shown]
	v_fmac_f16_e32 v83, v39, v27
	v_fmac_f16_e32 v79, v41, v28
	v_fmac_f16_e32 v78, v40, v29
	v_mul_f16_e32 v8, v35, v84
	v_mul_f16_e32 v9, v34, v80
	;; [unrolled: 1-line block ×3, first 2 shown]
	s_wait_dscnt 0xb
	v_mul_f16_e32 v28, v66, v84
	s_wait_dscnt 0x7
	v_mul_f16_e32 v27, v70, v80
	s_wait_loadcnt 0x2
	v_lshrrev_b32_e32 v40, 16, v47
	v_lshrrev_b32_e32 v80, 16, v49
	v_fmac_f16_e32 v0, v38, v26
	v_mul_f16_e32 v26, v37, v86
	v_mul_f16_e32 v38, v61, v85
	;; [unrolled: 1-line block ×3, first 2 shown]
	v_lshrrev_b32_e32 v29, 16, v46
	v_lshrrev_b32_e32 v41, 16, v48
	v_add_f16_e32 v86, v6, v81
	v_add_f16_e32 v90, v5, v60
	v_fma_f16 v66, v43, v66, -v8
	v_fma_f16 v61, v44, v61, -v10
	v_fmac_f16_e32 v28, v35, v43
	v_fmac_f16_e32 v27, v34, v42
	v_mul_f16_e32 v10, v15, v40
	v_mul_f16_e32 v34, v32, v80
	;; [unrolled: 1-line block ×3, first 2 shown]
	s_wait_loadcnt 0x1
	v_lshrrev_b32_e32 v40, 16, v50
	v_lshrrev_b32_e32 v43, 16, v53
	v_sub_f16_e32 v82, v5, v6
	v_sub_f16_e32 v84, v60, v81
	;; [unrolled: 1-line block ×6, first 2 shown]
	s_wait_dscnt 0x3
	v_add_f16_e32 v91, v6, v74
	v_sub_f16_e32 v92, v83, v0
	v_sub_f16_e32 v93, v79, v78
	;; [unrolled: 1-line block ×3, first 2 shown]
	v_add_f16_e32 v95, v0, v78
	v_sub_f16_e32 v97, v0, v83
	v_sub_f16_e32 v98, v78, v79
	v_add_f16_e32 v99, v83, v79
	v_add_f16_e32 v100, v33, v0
	v_fma_f16 v9, v42, v70, -v9
	v_fma_f16 v70, v45, v30, -v26
	v_fmac_f16_e32 v38, v36, v44
	v_fmac_f16_e32 v39, v37, v45
	v_mul_f16_e32 v26, v14, v29
	v_mul_f16_e32 v30, v24, v41
	;; [unrolled: 1-line block ×5, first 2 shown]
	v_lshrrev_b32_e32 v41, 16, v51
	v_lshrrev_b32_e32 v42, 16, v52
	v_fma_f16 v0, -0.5, v86, v74
	v_fma_f16 v6, -0.5, v90, v74
	v_fma_f16 v105, v49, v31, -v34
	v_mul_f16_e32 v31, v21, v40
	v_mul_f16_e32 v34, v23, v43
	v_sub_f16_e32 v96, v5, v60
	v_add_f16_e32 v44, v82, v84
	v_add_f16_e32 v45, v88, v89
	v_add_f16_e32 v74, v5, v91
	v_add_f16_e32 v80, v92, v93
	v_fma_f16 v5, -0.5, v95, v33
	v_add_f16_e32 v82, v97, v98
	v_fma_f16 v8, -0.5, v99, v33
	v_add_f16_e32 v33, v83, v100
	v_sub_f16_e32 v83, v66, v9
	v_sub_f16_e32 v84, v61, v70
	v_add_f16_e32 v88, v9, v70
	v_sub_f16_e32 v90, v9, v66
	v_add_f16_e32 v92, v66, v61
	s_wait_dscnt 0x2
	v_add_f16_e32 v93, v9, v75
	v_sub_f16_e32 v98, v9, v70
	v_add_f16_e32 v104, v25, v27
	v_fma_f16 v67, v47, v67, -v10
	v_fma_f16 v71, v46, v71, -v26
	;; [unrolled: 1-line block ×3, first 2 shown]
	v_fmac_f16_e32 v29, v14, v46
	v_fmac_f16_e32 v37, v32, v49
	v_mul_f16_e32 v30, v22, v41
	v_mul_f16_e32 v32, v20, v42
	;; [unrolled: 1-line block ×6, first 2 shown]
	v_fmamk_f16 v10, v85, 0x3b9c, v0
	v_fmac_f16_e32 v0, 0xbb9c, v85
	v_fmamk_f16 v9, v87, 0xbb9c, v6
	v_fmac_f16_e32 v6, 0x3b9c, v87
	v_fma_f16 v72, v50, v72, -v31
	v_fma_f16 v58, v53, v58, -v34
	v_sub_f16_e32 v95, v28, v27
	v_sub_f16_e32 v97, v38, v39
	v_add_f16_e32 v99, v27, v39
	v_sub_f16_e32 v89, v27, v39
	v_sub_f16_e32 v100, v66, v61
	;; [unrolled: 1-line block ×3, first 2 shown]
	v_fmac_f16_e32 v35, v15, v47
	v_fmac_f16_e32 v36, v24, v48
	s_wait_loadcnt 0x0
	v_lshrrev_b32_e32 v46, 16, v54
	v_lshrrev_b32_e32 v49, 16, v57
	v_add_f16_e32 v60, v60, v74
	v_add_f16_e32 v33, v33, v79
	;; [unrolled: 1-line block ×3, first 2 shown]
	v_fma_f16 v27, -0.5, v92, v75
	v_add_f16_e32 v66, v66, v93
	v_add_f16_e32 v84, v28, v104
	;; [unrolled: 1-line block ×4, first 2 shown]
	v_fma_f16 v68, v51, v68, -v30
	v_fma_f16 v64, v52, v64, -v32
	v_fmac_f16_e32 v41, v22, v51
	v_fmac_f16_e32 v42, v20, v52
	;; [unrolled: 1-line block ×6, first 2 shown]
	v_add_f16_e32 v85, v72, v58
	v_sub_f16_e32 v91, v70, v61
	v_sub_f16_e32 v102, v39, v38
	v_lshrrev_b32_e32 v47, 16, v55
	v_fmamk_f16 v15, v96, 0xbb9c, v5
	v_fmac_f16_e32 v5, 0x3b9c, v96
	v_fma_f16 v24, -0.5, v88, v75
	v_add_f16_e32 v75, v95, v97
	v_fma_f16 v26, -0.5, v99, v25
	v_sub_f16_e32 v95, v71, v67
	v_sub_f16_e32 v97, v105, v62
	v_add_f16_e32 v99, v67, v62
	v_add_f16_e32 v110, v19, v29
	v_fmac_f16_e32 v40, v21, v50
	v_fmac_f16_e32 v43, v23, v53
	v_sub_f16_e32 v86, v28, v38
	v_add_f16_e32 v103, v28, v38
	v_lshrrev_b32_e32 v48, 16, v56
	v_sub_f16_e32 v106, v67, v62
	v_add_f16_e32 v109, v35, v36
	v_mul_f16_e32 v50, v16, v46
	v_mul_f16_e32 v52, v12, v49
	;; [unrolled: 1-line block ×3, first 2 shown]
	v_add_f16_e32 v21, v33, v78
	v_add_f16_e32 v33, v61, v66
	v_add_f16_e32 v38, v84, v38
	s_wait_dscnt 0x1
	v_fma_f16 v30, -0.5, v92, v76
	v_fma_f16 v31, -0.5, v104, v19
	v_sub_f16_e32 v84, v41, v42
	v_add_f16_e32 v92, v68, v64
	v_fmac_f16_e32 v10, 0x34f2, v44
	v_fmac_f16_e32 v0, 0x34f2, v44
	v_fma_f16 v44, -0.5, v85, v63
	v_fmamk_f16 v14, v94, 0x3b9c, v8
	v_fmac_f16_e32 v8, 0xbb9c, v94
	v_add_f16_e32 v79, v90, v91
	v_add_f16_e32 v83, v101, v102
	v_sub_f16_e32 v91, v35, v36
	v_add_f16_e32 v101, v71, v76
	v_mul_f16_e32 v34, v18, v47
	v_mul_f16_e32 v47, v69, v47
	v_add_f16_e32 v20, v81, v60
	v_fmac_f16_e32 v15, 0x38b4, v94
	v_fmac_f16_e32 v5, 0xb8b4, v94
	v_add_f16_e32 v60, v95, v97
	v_fma_f16 v32, -0.5, v99, v76
	v_add_f16_e32 v76, v35, v110
	v_add_f16_e32 v94, v72, v63
	;; [unrolled: 1-line block ×3, first 2 shown]
	v_fma_f16 v25, -0.5, v103, v25
	v_sub_f16_e32 v88, v67, v71
	v_sub_f16_e32 v90, v62, v105
	;; [unrolled: 1-line block ×6, first 2 shown]
	v_mul_f16_e32 v51, v17, v48
	v_mul_f16_e32 v48, v65, v48
	v_fma_f16 v19, -0.5, v109, v19
	v_sub_f16_e32 v78, v68, v72
	v_sub_f16_e32 v81, v64, v58
	;; [unrolled: 1-line block ×3, first 2 shown]
	v_fma_f16 v50, v54, v73, -v50
	v_fma_f16 v52, v57, v59, -v52
	v_fmac_f16_e32 v46, v16, v54
	v_add_f16_e32 v16, v70, v33
	v_fmamk_f16 v35, v106, 0xbb9c, v31
	v_fmac_f16_e32 v31, 0x3b9c, v106
	v_fma_f16 v54, -0.5, v92, v63
	v_fmamk_f16 v70, v84, 0x3b9c, v44
	v_fmac_f16_e32 v44, 0xbb9c, v84
	v_sub_f16_e32 v93, v29, v37
	v_sub_f16_e32 v108, v37, v36
	v_mul_f16_e32 v49, v59, v49
	v_add_f16_e32 v61, v67, v101
	v_sub_f16_e32 v95, v41, v40
	v_sub_f16_e32 v99, v68, v64
	;; [unrolled: 1-line block ×3, first 2 shown]
	v_add_f16_e32 v40, v13, v40
	v_fma_f16 v69, v55, v69, -v34
	v_fmac_f16_e32 v47, v18, v55
	v_fmamk_f16 v34, v91, 0x3b9c, v30
	v_fmac_f16_e32 v30, 0xbb9c, v91
	v_add_f16_e32 v36, v76, v36
	v_add_f16_e32 v55, v68, v94
	v_fma_f16 v59, -0.5, v97, v13
	v_add_f16_e32 v53, v88, v90
	v_add_f16_e32 v66, v102, v103
	v_sub_f16_e32 v88, v72, v68
	v_sub_f16_e32 v90, v58, v64
	v_add_f16_e32 v103, v41, v42
	v_fma_f16 v51, v56, v65, -v51
	v_fmac_f16_e32 v48, v17, v56
	v_add_f16_e32 v17, v38, v39
	v_fmamk_f16 v33, v71, 0x3b9c, v19
	v_fmac_f16_e32 v19, 0xbb9c, v71
	v_add_f16_e32 v39, v78, v81
	v_add_f16_e32 v63, v50, v52
	v_fmac_f16_e32 v35, 0x38b4, v71
	v_fmac_f16_e32 v31, 0xb8b4, v71
	v_fmamk_f16 v71, v87, 0xbb9c, v54
	v_fmac_f16_e32 v54, 0x3b9c, v87
	v_fmac_f16_e32 v70, 0xb8b4, v87
	;; [unrolled: 1-line block ×5, first 2 shown]
	v_sub_f16_e32 v96, v42, v43
	v_sub_f16_e32 v72, v72, v58
	v_fmac_f16_e32 v34, 0xb8b4, v93
	v_fmac_f16_e32 v30, 0x38b4, v93
	v_add_f16_e32 v68, v36, v37
	v_add_f16_e32 v36, v64, v55
	v_fmamk_f16 v55, v99, 0xbb9c, v59
	v_fmac_f16_e32 v59, 0x3b9c, v99
	v_fmac_f16_e32 v49, v12, v57
	v_add_f16_e32 v12, v41, v40
	v_fmac_f16_e32 v9, 0x34f2, v45
	v_fmac_f16_e32 v6, 0x34f2, v45
	v_add_f16_e32 v38, v62, v61
	v_add_f16_e32 v45, v88, v90
	v_fma_f16 v62, -0.5, v103, v13
	v_sub_f16_e32 v13, v47, v48
	s_wait_dscnt 0x0
	v_fma_f16 v63, -0.5, v63, v77
	v_fmac_f16_e32 v71, 0xb8b4, v84
	v_fmac_f16_e32 v54, 0x38b4, v84
	v_fmac_f16_e32 v70, 0x34f2, v39
	v_fmac_f16_e32 v44, 0x34f2, v39
	v_add_f16_e32 v39, v69, v51
	v_add_f16_e32 v56, v95, v96
	v_fmac_f16_e32 v34, 0x34f2, v53
	v_fmac_f16_e32 v30, 0x34f2, v53
	v_add_f16_e32 v53, v58, v36
	v_fmac_f16_e32 v55, 0x38b4, v72
	v_fmac_f16_e32 v59, 0xb8b4, v72
	v_sub_f16_e32 v36, v69, v50
	v_sub_f16_e32 v37, v51, v52
	v_add_f16_e32 v12, v12, v42
	v_add_f16_e32 v65, v105, v38
	v_fmac_f16_e32 v71, 0x34f2, v45
	v_fmac_f16_e32 v54, 0x34f2, v45
	v_fmamk_f16 v45, v13, 0x3b9c, v63
	v_sub_f16_e32 v38, v46, v49
	v_fma_f16 v41, -0.5, v39, v77
	v_fmac_f16_e32 v63, 0xbb9c, v13
	v_fmac_f16_e32 v55, 0x34f2, v56
	;; [unrolled: 1-line block ×3, first 2 shown]
	v_add_f16_e32 v36, v36, v37
	v_add_f16_e32 v56, v12, v43
	v_sub_f16_e32 v12, v50, v69
	v_sub_f16_e32 v37, v52, v51
	v_fmac_f16_e32 v45, 0xb8b4, v38
	v_fmamk_f16 v57, v38, 0xbb9c, v41
	v_fmac_f16_e32 v63, 0x38b4, v38
	v_fmac_f16_e32 v41, 0x3b9c, v38
	v_add_f16_e32 v38, v50, v77
	v_add_f16_e32 v12, v12, v37
	v_mul_hi_u32 v37, 0x91a2b3c5, v7
	v_fmac_f16_e32 v57, 0xb8b4, v13
	v_fmac_f16_e32 v41, 0x38b4, v13
	v_add_f16_e32 v13, v69, v38
	v_fmac_f16_e32 v45, 0x34f2, v36
	v_fmac_f16_e32 v63, 0x34f2, v36
	v_add_f16_e32 v36, v46, v49
	v_fmac_f16_e32 v57, 0x34f2, v12
	v_fmac_f16_e32 v41, 0x34f2, v12
	v_add_f16_e32 v12, v51, v13
	v_lshrrev_b32_e32 v37, 8, v37
	v_sub_f16_e32 v102, v43, v42
	v_fma_f16 v43, -0.5, v36, v11
	v_sub_f16_e32 v13, v69, v51
	v_sub_f16_e32 v36, v47, v46
	;; [unrolled: 1-line block ×3, first 2 shown]
	v_add_f16_e32 v40, v47, v48
	v_add_f16_e32 v42, v52, v12
	v_mul_u32_u24_e32 v12, 0x1c2, v37
	v_sub_f16_e32 v39, v50, v52
	v_fmamk_f16 v50, v13, 0xbb9c, v43
	v_add_f16_e32 v38, v36, v38
	v_fma_f16 v51, -0.5, v40, v11
	v_fmac_f16_e32 v43, 0x3b9c, v13
	v_sub_f16_e32 v36, v46, v47
	v_sub_nc_u32_e32 v40, v7, v12
	v_sub_f16_e32 v37, v49, v48
	v_add_f16_e32 v46, v11, v46
	v_fmac_f16_e32 v50, 0x38b4, v39
	v_fmamk_f16 v52, v39, 0x3b9c, v51
	v_fmac_f16_e32 v43, 0xb8b4, v39
	v_fmac_f16_e32 v51, 0xbb9c, v39
	v_add_f16_e32 v39, v36, v37
	v_add_f16_e32 v36, v47, v46
	v_add_nc_u32_e32 v46, 0x1c2, v40
	v_mad_co_u64_u32 v[11:12], null, s16, v40, 0
	v_fmac_f16_e32 v52, 0x38b4, v13
	s_delay_alu instid0(VALU_DEP_4) | instskip(NEXT) | instid1(VALU_DEP_4)
	v_add_f16_e32 v47, v36, v48
	v_mad_co_u64_u32 v[36:37], null, s16, v46, 0
	v_fmac_f16_e32 v51, 0xb8b4, v13
	v_fmac_f16_e32 v14, 0x34f2, v82
	v_mad_co_u64_u32 v[12:13], null, s17, v40, v[12:13]
	v_fmac_f16_e32 v52, 0x34f2, v39
	s_delay_alu instid0(VALU_DEP_4)
	v_fmac_f16_e32 v51, 0x34f2, v39
	v_mov_b32_e32 v13, v37
	v_add_f16_e32 v39, v47, v49
	v_fmac_f16_e32 v50, 0x34f2, v38
	v_fmac_f16_e32 v43, 0x34f2, v38
	v_fmamk_f16 v18, v93, 0xbb9c, v32
	v_mad_co_u64_u32 v[37:38], null, s17, v46, v[13:14]
	v_add_co_u32 v13, vcc_lo, s6, v3
	v_pack_b32_f16 v49, v39, v42
	v_add_nc_u32_e32 v42, 0x546, v40
	s_wait_alu 0xfffd
	v_add_co_ci_u32_e32 v38, vcc_lo, s7, v4, vcc_lo
	v_lshlrev_b64_e32 v[3:4], 2, v[11:12]
	v_add_co_u32 v47, vcc_lo, v13, v1
	v_lshlrev_b64_e32 v[11:12], 2, v[36:37]
	v_mad_co_u64_u32 v[36:37], null, s16, v42, 0
	v_add_nc_u32_e32 v13, 0x5a, v7
	v_fmac_f16_e32 v32, 0x3b9c, v93
	v_add_nc_u32_e32 v46, 0x384, v40
	s_wait_alu 0xfffd
	v_add_co_ci_u32_e32 v48, vcc_lo, v38, v2, vcc_lo
	v_mul_hi_u32 v38, 0x91a2b3c5, v13
	v_fmac_f16_e32 v18, 0xb8b4, v91
	v_fmac_f16_e32 v32, 0x38b4, v91
	v_mad_co_u64_u32 v[1:2], null, s16, v46, 0
	v_add_co_u32 v3, vcc_lo, v47, v3
	s_delay_alu instid0(VALU_DEP_4) | instskip(NEXT) | instid1(VALU_DEP_4)
	v_fmac_f16_e32 v18, 0x34f2, v60
	v_fmac_f16_e32 v32, 0x34f2, v60
	v_lshrrev_b32_e32 v60, 8, v38
	v_add_nc_u32_e32 v58, 0x708, v40
	v_mad_co_u64_u32 v[38:39], null, s17, v46, v[2:3]
	v_mov_b32_e32 v2, v37
	s_delay_alu instid0(VALU_DEP_4) | instskip(NEXT) | instid1(VALU_DEP_4)
	v_mul_u32_u24_e32 v37, 0x1c2, v60
	v_mad_co_u64_u32 v[39:40], null, s16, v58, 0
	s_wait_alu 0xfffd
	v_add_co_ci_u32_e32 v4, vcc_lo, v48, v4, vcc_lo
	v_add_co_u32 v11, vcc_lo, v47, v11
	v_sub_nc_u32_e32 v13, v13, v37
	s_wait_alu 0xfffd
	v_add_co_ci_u32_e32 v12, vcc_lo, v48, v12, vcc_lo
	v_pack_b32_f16 v46, v51, v41
	v_mad_co_u64_u32 v[41:42], null, s17, v42, v[2:3]
	s_clause 0x1
	global_store_b32 v[3:4], v49, off
	global_store_b32 v[11:12], v46, off
	v_mov_b32_e32 v3, v40
	v_mad_u32_u24 v46, 0x8ca, v60, v13
	v_mov_b32_e32 v2, v38
	v_pack_b32_f16 v49, v43, v63
	v_mov_b32_e32 v37, v41
	v_mad_co_u64_u32 v[3:4], null, s17, v58, v[3:4]
	v_add_nc_u32_e32 v43, 0x1c2, v46
	v_mad_co_u64_u32 v[11:12], null, s16, v46, 0
	v_lshlrev_b64_e32 v[1:2], 2, v[1:2]
	v_lshlrev_b64_e32 v[36:37], 2, v[36:37]
	s_delay_alu instid0(VALU_DEP_4) | instskip(SKIP_4) | instid1(VALU_DEP_4)
	v_mad_co_u64_u32 v[41:42], null, s16, v43, 0
	v_mov_b32_e32 v40, v3
	v_fmac_f16_e32 v5, 0x34f2, v80
	v_mov_b32_e32 v3, v12
	v_add_co_u32 v1, vcc_lo, v47, v1
	v_lshlrev_b64_e32 v[12:13], 2, v[39:40]
	s_wait_alu 0xfffd
	v_add_co_ci_u32_e32 v2, vcc_lo, v48, v2, vcc_lo
	v_mad_co_u64_u32 v[3:4], null, s17, v46, v[3:4]
	v_add_co_u32 v36, vcc_lo, v47, v36
	v_mov_b32_e32 v4, v42
	s_wait_alu 0xfffd
	v_add_co_ci_u32_e32 v37, vcc_lo, v48, v37, vcc_lo
	v_add_co_u32 v38, vcc_lo, v47, v12
	s_wait_alu 0xfffd
	v_add_co_ci_u32_e32 v39, vcc_lo, v48, v13, vcc_lo
	v_mad_co_u64_u32 v[42:43], null, s17, v43, v[4:5]
	v_dual_mov_b32 v12, v3 :: v_dual_add_nc_u32 v43, 0x546, v46
	v_pack_b32_f16 v3, v52, v57
	v_add_nc_u32_e32 v13, 0x384, v46
	v_pack_b32_f16 v40, v50, v45
	s_clause 0x1
	global_store_b32 v[1:2], v49, off
	global_store_b32 v[36:37], v40, off
	v_add_nc_u32_e32 v49, 0xb4, v7
	global_store_b32 v[38:39], v3, off
	v_mad_co_u64_u32 v[3:4], null, s16, v13, 0
	v_fmamk_f16 v64, v72, 0x3b9c, v62
	v_fmac_f16_e32 v62, 0xbb9c, v72
	v_mad_co_u64_u32 v[36:37], null, s16, v43, 0
	v_lshlrev_b64_e32 v[1:2], 2, v[11:12]
	v_add_f16_e32 v61, v101, v102
	s_delay_alu instid0(VALU_DEP_4)
	v_fmac_f16_e32 v62, 0xb8b4, v99
	v_mul_hi_u32 v50, 0x91a2b3c5, v49
	v_lshlrev_b64_e32 v[11:12], 2, v[41:42]
	v_mad_co_u64_u32 v[38:39], null, s17, v13, v[4:5]
	v_add_nc_u32_e32 v46, 0x708, v46
	v_mov_b32_e32 v4, v37
	v_fmac_f16_e32 v62, 0x34f2, v61
	v_add_co_u32 v1, vcc_lo, v47, v1
	s_wait_alu 0xfffd
	v_add_co_ci_u32_e32 v2, vcc_lo, v48, v2, vcc_lo
	v_add_co_u32 v11, vcc_lo, v47, v11
	v_mad_co_u64_u32 v[39:40], null, s16, v46, 0
	v_mad_co_u64_u32 v[41:42], null, s17, v43, v[4:5]
	v_pack_b32_f16 v45, v56, v53
	v_lshrrev_b32_e32 v42, 8, v50
	s_wait_alu 0xfffd
	v_add_co_ci_u32_e32 v12, vcc_lo, v48, v12, vcc_lo
	v_pack_b32_f16 v13, v62, v54
	v_mov_b32_e32 v4, v38
	s_clause 0x1
	global_store_b32 v[1:2], v45, off
	global_store_b32 v[11:12], v13, off
	v_mul_u32_u24_e32 v13, 0x1c2, v42
	v_lshlrev_b64_e32 v[2:3], 2, v[3:4]
	v_mov_b32_e32 v1, v40
	v_mov_b32_e32 v37, v41
	v_pack_b32_f16 v44, v59, v44
	v_sub_nc_u32_e32 v4, v49, v13
	v_fmac_f16_e32 v64, 0x38b4, v99
	v_mad_co_u64_u32 v[11:12], null, s17, v46, v[1:2]
	v_add_co_u32 v1, vcc_lo, v47, v2
	s_delay_alu instid0(VALU_DEP_4)
	v_mad_u32_u24 v45, 0x8ca, v42, v4
	s_wait_alu 0xfffd
	v_add_co_ci_u32_e32 v2, vcc_lo, v48, v3, vcc_lo
	v_lshlrev_b64_e32 v[3:4], 2, v[36:37]
	v_mov_b32_e32 v40, v11
	v_mad_co_u64_u32 v[11:12], null, s16, v45, 0
	v_add_nc_u32_e32 v49, 0x384, v45
	v_pack_b32_f16 v46, v55, v70
	s_delay_alu instid0(VALU_DEP_4) | instskip(SKIP_1) | instid1(VALU_DEP_4)
	v_lshlrev_b64_e32 v[36:37], 2, v[39:40]
	v_add_co_u32 v3, vcc_lo, v47, v3
	v_mad_co_u64_u32 v[40:41], null, s16, v49, 0
	v_mad_co_u64_u32 v[12:13], null, s17, v45, v[12:13]
	s_wait_alu 0xfffd
	v_add_co_ci_u32_e32 v4, vcc_lo, v48, v4, vcc_lo
	s_clause 0x1
	global_store_b32 v[1:2], v44, off
	global_store_b32 v[3:4], v46, off
	v_mov_b32_e32 v1, v41
	v_lshlrev_b64_e32 v[2:3], 2, v[11:12]
	v_fmac_f16_e32 v64, 0x34f2, v61
	v_add_co_u32 v36, vcc_lo, v47, v36
	s_wait_alu 0xfffd
	v_add_co_ci_u32_e32 v37, vcc_lo, v48, v37, vcc_lo
	s_delay_alu instid0(VALU_DEP_4)
	v_mad_co_u64_u32 v[11:12], null, s17, v49, v[1:2]
	v_add_nc_u32_e32 v42, 0x1c2, v45
	v_add_co_u32 v1, vcc_lo, v47, v2
	s_wait_alu 0xfffd
	v_add_co_ci_u32_e32 v2, vcc_lo, v48, v3, vcc_lo
	v_add_f16_e32 v67, v107, v108
	v_mov_b32_e32 v41, v11
	v_mad_co_u64_u32 v[38:39], null, s16, v42, 0
	v_fmac_f16_e32 v19, 0xb8b4, v106
	v_pack_b32_f16 v44, v68, v65
	v_fmac_f16_e32 v31, 0x34f2, v66
	v_fmac_f16_e32 v33, 0x38b4, v106
	;; [unrolled: 1-line block ×4, first 2 shown]
	v_mov_b32_e32 v13, v39
	v_pack_b32_f16 v39, v64, v71
	v_fmac_f16_e32 v33, 0x34f2, v67
	v_pack_b32_f16 v35, v35, v34
	v_pack_b32_f16 v19, v19, v32
	v_mad_co_u64_u32 v[42:43], null, s17, v42, v[13:14]
	v_add_nc_u32_e32 v13, 0x10e, v7
	global_store_b32 v[36:37], v39, off
	v_add_nc_u32_e32 v43, 0x546, v45
	v_add_nc_u32_e32 v45, 0x708, v45
	v_fmamk_f16 v28, v86, 0x3b9c, v24
	v_mul_hi_u32 v4, 0x91a2b3c5, v13
	v_mov_b32_e32 v39, v42
	v_mad_co_u64_u32 v[11:12], null, s16, v43, 0
	v_mad_co_u64_u32 v[36:37], null, s16, v45, 0
	v_fmac_f16_e32 v24, 0xbb9c, v86
	v_fmamk_f16 v29, v100, 0xbb9c, v26
	v_lshrrev_b32_e32 v42, 8, v4
	v_lshlrev_b64_e32 v[3:4], 2, v[38:39]
	v_fmac_f16_e32 v26, 0x3b9c, v100
	v_fmamk_f16 v22, v89, 0xbb9c, v27
	v_fmac_f16_e32 v27, 0x3b9c, v89
	v_mul_u32_u24_e32 v38, 0x1c2, v42
	v_fmamk_f16 v23, v98, 0x3b9c, v25
	v_add_co_u32 v3, vcc_lo, v47, v3
	s_wait_alu 0xfffd
	v_add_co_ci_u32_e32 v4, vcc_lo, v48, v4, vcc_lo
	v_sub_nc_u32_e32 v13, v13, v38
	v_lshlrev_b64_e32 v[38:39], 2, v[40:41]
	s_clause 0x1
	global_store_b32 v[1:2], v44, off
	global_store_b32 v[3:4], v19, off
	v_fmac_f16_e32 v25, 0xbb9c, v98
	v_fmac_f16_e32 v8, 0x34f2, v82
	v_mad_u32_u24 v46, 0x8ca, v42, v13
	v_mad_co_u64_u32 v[12:13], null, s17, v43, v[12:13]
	v_mov_b32_e32 v13, v37
	v_add_co_u32 v37, vcc_lo, v47, v38
	s_delay_alu instid0(VALU_DEP_4)
	v_add_nc_u32_e32 v32, 0x1c2, v46
	v_mad_co_u64_u32 v[40:41], null, s16, v46, 0
	v_lshlrev_b64_e32 v[2:3], 2, v[11:12]
	s_wait_alu 0xfffd
	v_add_co_ci_u32_e32 v38, vcc_lo, v48, v39, vcc_lo
	v_mad_co_u64_u32 v[42:43], null, s17, v45, v[13:14]
	v_pack_b32_f16 v13, v31, v30
	v_mov_b32_e32 v1, v41
	v_fmac_f16_e32 v24, 0x38b4, v89
	v_fmac_f16_e32 v26, 0xb8b4, v98
	;; [unrolled: 1-line block ×3, first 2 shown]
	global_store_b32 v[37:38], v13, off
	v_mad_co_u64_u32 v[11:12], null, s17, v46, v[1:2]
	v_mad_co_u64_u32 v[12:13], null, s16, v32, 0
	v_dual_mov_b32 v37, v42 :: v_dual_add_nc_u32 v38, 0x546, v46
	v_add_co_u32 v1, vcc_lo, v47, v2
	s_delay_alu instid0(VALU_DEP_4)
	v_mov_b32_e32 v41, v11
	s_wait_alu 0xfffd
	v_add_co_ci_u32_e32 v2, vcc_lo, v48, v3, vcc_lo
	v_mov_b32_e32 v11, v13
	v_lshlrev_b64_e32 v[3:4], 2, v[36:37]
	v_pack_b32_f16 v37, v33, v18
	v_add_nc_u32_e32 v36, 0x384, v46
	v_fmac_f16_e32 v25, 0xb8b4, v100
	v_mad_co_u64_u32 v[32:33], null, s17, v32, v[11:12]
	v_add_co_u32 v3, vcc_lo, v47, v3
	s_delay_alu instid0(VALU_DEP_4) | instskip(SKIP_1) | instid1(VALU_DEP_4)
	v_mad_co_u64_u32 v[30:31], null, s16, v36, 0
	v_mad_co_u64_u32 v[33:34], null, s16, v38, 0
	v_dual_mov_b32 v13, v32 :: v_dual_add_nc_u32 v32, 0x168, v7
	v_lshlrev_b64_e32 v[18:19], 2, v[40:41]
	s_wait_alu 0xfffd
	v_add_co_ci_u32_e32 v4, vcc_lo, v48, v4, vcc_lo
	v_mov_b32_e32 v11, v31
	v_pack_b32_f16 v31, v17, v16
	v_mul_hi_u32 v7, 0x91a2b3c5, v32
	v_add_co_u32 v18, vcc_lo, v47, v18
	s_wait_alu 0xfffd
	v_add_co_ci_u32_e32 v19, vcc_lo, v48, v19, vcc_lo
	s_clause 0x2
	global_store_b32 v[1:2], v35, off
	global_store_b32 v[3:4], v37, off
	;; [unrolled: 1-line block ×3, first 2 shown]
	v_lshlrev_b64_e32 v[2:3], 2, v[12:13]
	v_mov_b32_e32 v1, v34
	v_mad_co_u64_u32 v[16:17], null, s17, v36, v[11:12]
	v_add_nc_u32_e32 v18, 0x708, v46
	v_fmac_f16_e32 v24, 0x34f2, v74
	s_delay_alu instid0(VALU_DEP_4) | instskip(SKIP_1) | instid1(VALU_DEP_4)
	v_mad_co_u64_u32 v[11:12], null, s17, v38, v[1:2]
	v_add_co_u32 v1, vcc_lo, v47, v2
	v_mad_co_u64_u32 v[12:13], null, s16, v18, 0
	v_mov_b32_e32 v31, v16
	v_fmac_f16_e32 v26, 0x34f2, v75
	v_mov_b32_e32 v34, v11
	v_lshrrev_b32_e32 v11, 8, v7
	s_wait_alu 0xfffd
	v_add_co_ci_u32_e32 v2, vcc_lo, v48, v3, vcc_lo
	v_mov_b32_e32 v7, v13
	v_lshlrev_b64_e32 v[3:4], 2, v[30:31]
	v_mul_u32_u24_e32 v13, 0x1c2, v11
	v_fmac_f16_e32 v28, 0xb8b4, v89
	v_fmac_f16_e32 v29, 0x38b4, v98
	v_mad_co_u64_u32 v[18:19], null, s17, v18, v[7:8]
	s_delay_alu instid0(VALU_DEP_4)
	v_sub_nc_u32_e32 v7, v32, v13
	v_lshlrev_b64_e32 v[16:17], 2, v[33:34]
	v_fmac_f16_e32 v27, 0x34f2, v79
	v_fmac_f16_e32 v25, 0x34f2, v83
	v_pack_b32_f16 v24, v26, v24
	v_mad_u32_u24 v26, 0x8ca, v11, v7
	v_fmac_f16_e32 v28, 0x34f2, v74
	v_fmac_f16_e32 v29, 0x34f2, v75
	v_add_co_u32 v3, vcc_lo, v47, v3
	s_wait_alu 0xfffd
	v_add_co_ci_u32_e32 v4, vcc_lo, v48, v4, vcc_lo
	v_pack_b32_f16 v25, v25, v27
	v_add_co_u32 v16, vcc_lo, v47, v16
	v_dual_mov_b32 v13, v18 :: v_dual_add_nc_u32 v18, 0x1c2, v26
	s_wait_alu 0xfffd
	v_add_co_ci_u32_e32 v17, vcc_lo, v48, v17, vcc_lo
	v_pack_b32_f16 v19, v29, v28
	s_clause 0x2
	global_store_b32 v[1:2], v25, off
	global_store_b32 v[3:4], v24, off
	;; [unrolled: 1-line block ×3, first 2 shown]
	v_lshlrev_b64_e32 v[1:2], 2, v[12:13]
	v_mad_co_u64_u32 v[11:12], null, s16, v18, 0
	v_add_nc_u32_e32 v24, 0x384, v26
	v_mad_co_u64_u32 v[3:4], null, s16, v26, 0
	v_fmac_f16_e32 v22, 0xb8b4, v86
	v_fmac_f16_e32 v23, 0x38b4, v100
	s_delay_alu instid0(VALU_DEP_4) | instskip(SKIP_1) | instid1(VALU_DEP_4)
	v_mad_co_u64_u32 v[16:17], null, s16, v24, 0
	v_mov_b32_e32 v7, v12
	v_fmac_f16_e32 v22, 0x34f2, v79
	s_delay_alu instid0(VALU_DEP_4)
	v_fmac_f16_e32 v23, 0x34f2, v83
	v_mad_co_u64_u32 v[12:13], null, s17, v26, v[4:5]
	v_add_nc_u32_e32 v27, 0x546, v26
	v_mad_co_u64_u32 v[18:19], null, s17, v18, v[7:8]
	v_mov_b32_e32 v7, v17
	v_pack_b32_f16 v13, v23, v22
	s_delay_alu instid0(VALU_DEP_4)
	v_mad_co_u64_u32 v[22:23], null, s16, v27, 0
	v_add_co_u32 v1, vcc_lo, v47, v1
	s_wait_alu 0xfffd
	v_add_co_ci_u32_e32 v2, vcc_lo, v48, v2, vcc_lo
	v_mov_b32_e32 v4, v12
	v_mad_co_u64_u32 v[24:25], null, s17, v24, v[7:8]
	v_add_nc_u32_e32 v7, 0x708, v26
	global_store_b32 v[1:2], v13, off
	v_lshlrev_b64_e32 v[1:2], 2, v[3:4]
	v_dual_mov_b32 v12, v18 :: v_dual_mov_b32 v3, v23
	v_mad_co_u64_u32 v[18:19], null, s16, v7, 0
	v_mov_b32_e32 v17, v24
	s_delay_alu instid0(VALU_DEP_3) | instskip(NEXT) | instid1(VALU_DEP_4)
	v_lshlrev_b64_e32 v[11:12], 2, v[11:12]
	v_mad_co_u64_u32 v[3:4], null, s17, v27, v[3:4]
	v_add_co_u32 v1, vcc_lo, v47, v1
	v_mov_b32_e32 v4, v19
	v_pack_b32_f16 v13, v21, v20
	v_lshlrev_b64_e32 v[16:17], 2, v[16:17]
	s_wait_alu 0xfffd
	v_add_co_ci_u32_e32 v2, vcc_lo, v48, v2, vcc_lo
	v_mad_co_u64_u32 v[19:20], null, s17, v7, v[4:5]
	v_mov_b32_e32 v23, v3
	v_add_co_u32 v3, vcc_lo, v47, v11
	s_wait_alu 0xfffd
	v_add_co_ci_u32_e32 v4, vcc_lo, v48, v12, vcc_lo
	v_pack_b32_f16 v20, v8, v6
	v_lshlrev_b64_e32 v[6:7], 2, v[22:23]
	v_add_co_u32 v11, vcc_lo, v47, v16
	s_wait_alu 0xfffd
	v_add_co_ci_u32_e32 v12, vcc_lo, v48, v17, vcc_lo
	v_lshlrev_b64_e32 v[16:17], 2, v[18:19]
	v_fmac_f16_e32 v15, 0x34f2, v80
	v_pack_b32_f16 v0, v5, v0
	v_add_co_u32 v5, vcc_lo, v47, v6
	s_wait_alu 0xfffd
	v_add_co_ci_u32_e32 v6, vcc_lo, v48, v7, vcc_lo
	v_add_co_u32 v7, vcc_lo, v47, v16
	v_pack_b32_f16 v10, v15, v10
	s_wait_alu 0xfffd
	v_add_co_ci_u32_e32 v8, vcc_lo, v48, v17, vcc_lo
	v_pack_b32_f16 v9, v14, v9
	s_clause 0x4
	global_store_b32 v[1:2], v13, off
	global_store_b32 v[3:4], v20, off
	global_store_b32 v[11:12], v0, off
	global_store_b32 v[5:6], v10, off
	global_store_b32 v[7:8], v9, off
.LBB0_37:
	s_nop 0
	s_sendmsg sendmsg(MSG_DEALLOC_VGPRS)
	s_endpgm
	.section	.rodata,"a",@progbits
	.p2align	6, 0x0
	.amdhsa_kernel fft_rtc_back_len2250_factors_10_3_5_3_5_wgs_90_tpt_90_halfLds_half_op_CI_CI_sbrr_dirReg
		.amdhsa_group_segment_fixed_size 0
		.amdhsa_private_segment_fixed_size 0
		.amdhsa_kernarg_size 104
		.amdhsa_user_sgpr_count 2
		.amdhsa_user_sgpr_dispatch_ptr 0
		.amdhsa_user_sgpr_queue_ptr 0
		.amdhsa_user_sgpr_kernarg_segment_ptr 1
		.amdhsa_user_sgpr_dispatch_id 0
		.amdhsa_user_sgpr_private_segment_size 0
		.amdhsa_wavefront_size32 1
		.amdhsa_uses_dynamic_stack 0
		.amdhsa_enable_private_segment 0
		.amdhsa_system_sgpr_workgroup_id_x 1
		.amdhsa_system_sgpr_workgroup_id_y 0
		.amdhsa_system_sgpr_workgroup_id_z 0
		.amdhsa_system_sgpr_workgroup_info 0
		.amdhsa_system_vgpr_workitem_id 0
		.amdhsa_next_free_vgpr 136
		.amdhsa_next_free_sgpr 43
		.amdhsa_reserve_vcc 1
		.amdhsa_float_round_mode_32 0
		.amdhsa_float_round_mode_16_64 0
		.amdhsa_float_denorm_mode_32 3
		.amdhsa_float_denorm_mode_16_64 3
		.amdhsa_fp16_overflow 0
		.amdhsa_workgroup_processor_mode 1
		.amdhsa_memory_ordered 1
		.amdhsa_forward_progress 0
		.amdhsa_round_robin_scheduling 0
		.amdhsa_exception_fp_ieee_invalid_op 0
		.amdhsa_exception_fp_denorm_src 0
		.amdhsa_exception_fp_ieee_div_zero 0
		.amdhsa_exception_fp_ieee_overflow 0
		.amdhsa_exception_fp_ieee_underflow 0
		.amdhsa_exception_fp_ieee_inexact 0
		.amdhsa_exception_int_div_zero 0
	.end_amdhsa_kernel
	.text
.Lfunc_end0:
	.size	fft_rtc_back_len2250_factors_10_3_5_3_5_wgs_90_tpt_90_halfLds_half_op_CI_CI_sbrr_dirReg, .Lfunc_end0-fft_rtc_back_len2250_factors_10_3_5_3_5_wgs_90_tpt_90_halfLds_half_op_CI_CI_sbrr_dirReg
                                        ; -- End function
	.section	.AMDGPU.csdata,"",@progbits
; Kernel info:
; codeLenInByte = 21584
; NumSgprs: 45
; NumVgprs: 136
; ScratchSize: 0
; MemoryBound: 0
; FloatMode: 240
; IeeeMode: 1
; LDSByteSize: 0 bytes/workgroup (compile time only)
; SGPRBlocks: 5
; VGPRBlocks: 16
; NumSGPRsForWavesPerEU: 45
; NumVGPRsForWavesPerEU: 136
; Occupancy: 10
; WaveLimiterHint : 1
; COMPUTE_PGM_RSRC2:SCRATCH_EN: 0
; COMPUTE_PGM_RSRC2:USER_SGPR: 2
; COMPUTE_PGM_RSRC2:TRAP_HANDLER: 0
; COMPUTE_PGM_RSRC2:TGID_X_EN: 1
; COMPUTE_PGM_RSRC2:TGID_Y_EN: 0
; COMPUTE_PGM_RSRC2:TGID_Z_EN: 0
; COMPUTE_PGM_RSRC2:TIDIG_COMP_CNT: 0
	.text
	.p2alignl 7, 3214868480
	.fill 96, 4, 3214868480
	.type	__hip_cuid_40f1d9165c54ebba,@object ; @__hip_cuid_40f1d9165c54ebba
	.section	.bss,"aw",@nobits
	.globl	__hip_cuid_40f1d9165c54ebba
__hip_cuid_40f1d9165c54ebba:
	.byte	0                               ; 0x0
	.size	__hip_cuid_40f1d9165c54ebba, 1

	.ident	"AMD clang version 19.0.0git (https://github.com/RadeonOpenCompute/llvm-project roc-6.4.0 25133 c7fe45cf4b819c5991fe208aaa96edf142730f1d)"
	.section	".note.GNU-stack","",@progbits
	.addrsig
	.addrsig_sym __hip_cuid_40f1d9165c54ebba
	.amdgpu_metadata
---
amdhsa.kernels:
  - .args:
      - .actual_access:  read_only
        .address_space:  global
        .offset:         0
        .size:           8
        .value_kind:     global_buffer
      - .offset:         8
        .size:           8
        .value_kind:     by_value
      - .actual_access:  read_only
        .address_space:  global
        .offset:         16
        .size:           8
        .value_kind:     global_buffer
      - .actual_access:  read_only
        .address_space:  global
        .offset:         24
        .size:           8
        .value_kind:     global_buffer
      - .actual_access:  read_only
        .address_space:  global
        .offset:         32
        .size:           8
        .value_kind:     global_buffer
      - .offset:         40
        .size:           8
        .value_kind:     by_value
      - .actual_access:  read_only
        .address_space:  global
        .offset:         48
        .size:           8
        .value_kind:     global_buffer
      - .actual_access:  read_only
        .address_space:  global
        .offset:         56
        .size:           8
        .value_kind:     global_buffer
      - .offset:         64
        .size:           4
        .value_kind:     by_value
      - .actual_access:  read_only
        .address_space:  global
        .offset:         72
        .size:           8
        .value_kind:     global_buffer
      - .actual_access:  read_only
        .address_space:  global
        .offset:         80
        .size:           8
        .value_kind:     global_buffer
      - .actual_access:  read_only
        .address_space:  global
        .offset:         88
        .size:           8
        .value_kind:     global_buffer
      - .actual_access:  write_only
        .address_space:  global
        .offset:         96
        .size:           8
        .value_kind:     global_buffer
    .group_segment_fixed_size: 0
    .kernarg_segment_align: 8
    .kernarg_segment_size: 104
    .language:       OpenCL C
    .language_version:
      - 2
      - 0
    .max_flat_workgroup_size: 90
    .name:           fft_rtc_back_len2250_factors_10_3_5_3_5_wgs_90_tpt_90_halfLds_half_op_CI_CI_sbrr_dirReg
    .private_segment_fixed_size: 0
    .sgpr_count:     45
    .sgpr_spill_count: 0
    .symbol:         fft_rtc_back_len2250_factors_10_3_5_3_5_wgs_90_tpt_90_halfLds_half_op_CI_CI_sbrr_dirReg.kd
    .uniform_work_group_size: 1
    .uses_dynamic_stack: false
    .vgpr_count:     136
    .vgpr_spill_count: 0
    .wavefront_size: 32
    .workgroup_processor_mode: 1
amdhsa.target:   amdgcn-amd-amdhsa--gfx1201
amdhsa.version:
  - 1
  - 2
...

	.end_amdgpu_metadata
